;; amdgpu-corpus repo=ROCm/rocFFT kind=compiled arch=gfx1201 opt=O3
	.text
	.amdgcn_target "amdgcn-amd-amdhsa--gfx1201"
	.amdhsa_code_object_version 6
	.protected	fft_rtc_back_len4050_factors_10_5_3_3_3_3_wgs_135_tpt_135_halfLds_dp_ip_CI_sbrr_dirReg ; -- Begin function fft_rtc_back_len4050_factors_10_5_3_3_3_3_wgs_135_tpt_135_halfLds_dp_ip_CI_sbrr_dirReg
	.globl	fft_rtc_back_len4050_factors_10_5_3_3_3_3_wgs_135_tpt_135_halfLds_dp_ip_CI_sbrr_dirReg
	.p2align	8
	.type	fft_rtc_back_len4050_factors_10_5_3_3_3_3_wgs_135_tpt_135_halfLds_dp_ip_CI_sbrr_dirReg,@function
fft_rtc_back_len4050_factors_10_5_3_3_3_3_wgs_135_tpt_135_halfLds_dp_ip_CI_sbrr_dirReg: ; @fft_rtc_back_len4050_factors_10_5_3_3_3_3_wgs_135_tpt_135_halfLds_dp_ip_CI_sbrr_dirReg
; %bb.0:
	s_clause 0x2
	s_load_b64 s[12:13], s[0:1], 0x18
	s_load_b128 s[4:7], s[0:1], 0x0
	s_load_b64 s[10:11], s[0:1], 0x50
	v_mul_u32_u24_e32 v1, 0x1e6, v0
	v_mov_b32_e32 v3, 0
	s_delay_alu instid0(VALU_DEP_2) | instskip(NEXT) | instid1(VALU_DEP_1)
	v_lshrrev_b32_e32 v1, 16, v1
	v_add_nc_u32_e32 v5, ttmp9, v1
	v_mov_b32_e32 v1, 0
	v_mov_b32_e32 v2, 0
	;; [unrolled: 1-line block ×3, first 2 shown]
	s_wait_kmcnt 0x0
	s_load_b64 s[8:9], s[12:13], 0x0
	v_cmp_lt_u64_e64 s2, s[6:7], 2
	s_delay_alu instid0(VALU_DEP_1)
	s_and_b32 vcc_lo, exec_lo, s2
	s_cbranch_vccnz .LBB0_8
; %bb.1:
	s_load_b64 s[2:3], s[0:1], 0x10
	v_mov_b32_e32 v1, 0
	v_mov_b32_e32 v2, 0
	s_add_nc_u64 s[14:15], s[12:13], 8
	s_mov_b64 s[16:17], 1
	s_wait_kmcnt 0x0
	s_add_nc_u64 s[18:19], s[2:3], 8
	s_mov_b32 s3, 0
.LBB0_2:                                ; =>This Inner Loop Header: Depth=1
	s_load_b64 s[20:21], s[18:19], 0x0
                                        ; implicit-def: $vgpr7_vgpr8
	s_mov_b32 s2, exec_lo
	s_wait_kmcnt 0x0
	v_or_b32_e32 v4, s21, v6
	s_delay_alu instid0(VALU_DEP_1)
	v_cmpx_ne_u64_e32 0, v[3:4]
	s_wait_alu 0xfffe
	s_xor_b32 s22, exec_lo, s2
	s_cbranch_execz .LBB0_4
; %bb.3:                                ;   in Loop: Header=BB0_2 Depth=1
	s_cvt_f32_u32 s2, s20
	s_cvt_f32_u32 s23, s21
	s_sub_nc_u64 s[26:27], 0, s[20:21]
	s_wait_alu 0xfffe
	s_delay_alu instid0(SALU_CYCLE_1) | instskip(SKIP_1) | instid1(SALU_CYCLE_2)
	s_fmamk_f32 s2, s23, 0x4f800000, s2
	s_wait_alu 0xfffe
	v_s_rcp_f32 s2, s2
	s_delay_alu instid0(TRANS32_DEP_1) | instskip(SKIP_1) | instid1(SALU_CYCLE_2)
	s_mul_f32 s2, s2, 0x5f7ffffc
	s_wait_alu 0xfffe
	s_mul_f32 s23, s2, 0x2f800000
	s_wait_alu 0xfffe
	s_delay_alu instid0(SALU_CYCLE_2) | instskip(SKIP_1) | instid1(SALU_CYCLE_2)
	s_trunc_f32 s23, s23
	s_wait_alu 0xfffe
	s_fmamk_f32 s2, s23, 0xcf800000, s2
	s_cvt_u32_f32 s25, s23
	s_wait_alu 0xfffe
	s_delay_alu instid0(SALU_CYCLE_1) | instskip(SKIP_1) | instid1(SALU_CYCLE_2)
	s_cvt_u32_f32 s24, s2
	s_wait_alu 0xfffe
	s_mul_u64 s[28:29], s[26:27], s[24:25]
	s_wait_alu 0xfffe
	s_mul_hi_u32 s31, s24, s29
	s_mul_i32 s30, s24, s29
	s_mul_hi_u32 s2, s24, s28
	s_mul_i32 s33, s25, s28
	s_wait_alu 0xfffe
	s_add_nc_u64 s[30:31], s[2:3], s[30:31]
	s_mul_hi_u32 s23, s25, s28
	s_mul_hi_u32 s34, s25, s29
	s_add_co_u32 s2, s30, s33
	s_wait_alu 0xfffe
	s_add_co_ci_u32 s2, s31, s23
	s_mul_i32 s28, s25, s29
	s_add_co_ci_u32 s29, s34, 0
	s_wait_alu 0xfffe
	s_add_nc_u64 s[28:29], s[2:3], s[28:29]
	s_wait_alu 0xfffe
	v_add_co_u32 v4, s2, s24, s28
	s_delay_alu instid0(VALU_DEP_1) | instskip(SKIP_1) | instid1(VALU_DEP_1)
	s_cmp_lg_u32 s2, 0
	s_add_co_ci_u32 s25, s25, s29
	v_readfirstlane_b32 s24, v4
	s_wait_alu 0xfffe
	s_delay_alu instid0(VALU_DEP_1)
	s_mul_u64 s[26:27], s[26:27], s[24:25]
	s_wait_alu 0xfffe
	s_mul_hi_u32 s29, s24, s27
	s_mul_i32 s28, s24, s27
	s_mul_hi_u32 s2, s24, s26
	s_mul_i32 s30, s25, s26
	s_wait_alu 0xfffe
	s_add_nc_u64 s[28:29], s[2:3], s[28:29]
	s_mul_hi_u32 s23, s25, s26
	s_mul_hi_u32 s24, s25, s27
	s_wait_alu 0xfffe
	s_add_co_u32 s2, s28, s30
	s_add_co_ci_u32 s2, s29, s23
	s_mul_i32 s26, s25, s27
	s_add_co_ci_u32 s27, s24, 0
	s_wait_alu 0xfffe
	s_add_nc_u64 s[26:27], s[2:3], s[26:27]
	s_wait_alu 0xfffe
	v_add_co_u32 v4, s2, v4, s26
	s_delay_alu instid0(VALU_DEP_1) | instskip(SKIP_1) | instid1(VALU_DEP_1)
	s_cmp_lg_u32 s2, 0
	s_add_co_ci_u32 s2, s25, s27
	v_mul_hi_u32 v13, v5, v4
	s_wait_alu 0xfffe
	v_mad_co_u64_u32 v[7:8], null, v5, s2, 0
	v_mad_co_u64_u32 v[9:10], null, v6, v4, 0
	;; [unrolled: 1-line block ×3, first 2 shown]
	s_delay_alu instid0(VALU_DEP_3) | instskip(SKIP_1) | instid1(VALU_DEP_4)
	v_add_co_u32 v4, vcc_lo, v13, v7
	s_wait_alu 0xfffd
	v_add_co_ci_u32_e32 v7, vcc_lo, 0, v8, vcc_lo
	s_delay_alu instid0(VALU_DEP_2) | instskip(SKIP_1) | instid1(VALU_DEP_2)
	v_add_co_u32 v4, vcc_lo, v4, v9
	s_wait_alu 0xfffd
	v_add_co_ci_u32_e32 v4, vcc_lo, v7, v10, vcc_lo
	s_wait_alu 0xfffd
	v_add_co_ci_u32_e32 v7, vcc_lo, 0, v12, vcc_lo
	s_delay_alu instid0(VALU_DEP_2) | instskip(SKIP_1) | instid1(VALU_DEP_2)
	v_add_co_u32 v4, vcc_lo, v4, v11
	s_wait_alu 0xfffd
	v_add_co_ci_u32_e32 v9, vcc_lo, 0, v7, vcc_lo
	s_delay_alu instid0(VALU_DEP_2) | instskip(SKIP_1) | instid1(VALU_DEP_3)
	v_mul_lo_u32 v10, s21, v4
	v_mad_co_u64_u32 v[7:8], null, s20, v4, 0
	v_mul_lo_u32 v11, s20, v9
	s_delay_alu instid0(VALU_DEP_2) | instskip(NEXT) | instid1(VALU_DEP_2)
	v_sub_co_u32 v7, vcc_lo, v5, v7
	v_add3_u32 v8, v8, v11, v10
	s_delay_alu instid0(VALU_DEP_1) | instskip(SKIP_1) | instid1(VALU_DEP_1)
	v_sub_nc_u32_e32 v10, v6, v8
	s_wait_alu 0xfffd
	v_subrev_co_ci_u32_e64 v10, s2, s21, v10, vcc_lo
	v_add_co_u32 v11, s2, v4, 2
	s_wait_alu 0xf1ff
	v_add_co_ci_u32_e64 v12, s2, 0, v9, s2
	v_sub_co_u32 v13, s2, v7, s20
	v_sub_co_ci_u32_e32 v8, vcc_lo, v6, v8, vcc_lo
	s_wait_alu 0xf1ff
	v_subrev_co_ci_u32_e64 v10, s2, 0, v10, s2
	s_delay_alu instid0(VALU_DEP_3) | instskip(NEXT) | instid1(VALU_DEP_3)
	v_cmp_le_u32_e32 vcc_lo, s20, v13
	v_cmp_eq_u32_e64 s2, s21, v8
	s_wait_alu 0xfffd
	v_cndmask_b32_e64 v13, 0, -1, vcc_lo
	v_cmp_le_u32_e32 vcc_lo, s21, v10
	s_wait_alu 0xfffd
	v_cndmask_b32_e64 v14, 0, -1, vcc_lo
	v_cmp_le_u32_e32 vcc_lo, s20, v7
	;; [unrolled: 3-line block ×3, first 2 shown]
	s_wait_alu 0xfffd
	v_cndmask_b32_e64 v15, 0, -1, vcc_lo
	v_cmp_eq_u32_e32 vcc_lo, s21, v10
	s_wait_alu 0xf1ff
	s_delay_alu instid0(VALU_DEP_2)
	v_cndmask_b32_e64 v7, v15, v7, s2
	s_wait_alu 0xfffd
	v_cndmask_b32_e32 v10, v14, v13, vcc_lo
	v_add_co_u32 v13, vcc_lo, v4, 1
	s_wait_alu 0xfffd
	v_add_co_ci_u32_e32 v14, vcc_lo, 0, v9, vcc_lo
	s_delay_alu instid0(VALU_DEP_3) | instskip(SKIP_2) | instid1(VALU_DEP_3)
	v_cmp_ne_u32_e32 vcc_lo, 0, v10
	s_wait_alu 0xfffd
	v_cndmask_b32_e32 v10, v13, v11, vcc_lo
	v_cndmask_b32_e32 v8, v14, v12, vcc_lo
	v_cmp_ne_u32_e32 vcc_lo, 0, v7
	s_wait_alu 0xfffd
	s_delay_alu instid0(VALU_DEP_2)
	v_dual_cndmask_b32 v7, v4, v10 :: v_dual_cndmask_b32 v8, v9, v8
.LBB0_4:                                ;   in Loop: Header=BB0_2 Depth=1
	s_wait_alu 0xfffe
	s_and_not1_saveexec_b32 s2, s22
	s_cbranch_execz .LBB0_6
; %bb.5:                                ;   in Loop: Header=BB0_2 Depth=1
	v_cvt_f32_u32_e32 v4, s20
	s_sub_co_i32 s22, 0, s20
	s_delay_alu instid0(VALU_DEP_1) | instskip(NEXT) | instid1(TRANS32_DEP_1)
	v_rcp_iflag_f32_e32 v4, v4
	v_mul_f32_e32 v4, 0x4f7ffffe, v4
	s_delay_alu instid0(VALU_DEP_1) | instskip(SKIP_1) | instid1(VALU_DEP_1)
	v_cvt_u32_f32_e32 v4, v4
	s_wait_alu 0xfffe
	v_mul_lo_u32 v7, s22, v4
	s_delay_alu instid0(VALU_DEP_1) | instskip(NEXT) | instid1(VALU_DEP_1)
	v_mul_hi_u32 v7, v4, v7
	v_add_nc_u32_e32 v4, v4, v7
	s_delay_alu instid0(VALU_DEP_1) | instskip(NEXT) | instid1(VALU_DEP_1)
	v_mul_hi_u32 v4, v5, v4
	v_mul_lo_u32 v7, v4, s20
	v_add_nc_u32_e32 v8, 1, v4
	s_delay_alu instid0(VALU_DEP_2) | instskip(NEXT) | instid1(VALU_DEP_1)
	v_sub_nc_u32_e32 v7, v5, v7
	v_subrev_nc_u32_e32 v9, s20, v7
	v_cmp_le_u32_e32 vcc_lo, s20, v7
	s_wait_alu 0xfffd
	s_delay_alu instid0(VALU_DEP_2) | instskip(NEXT) | instid1(VALU_DEP_1)
	v_dual_cndmask_b32 v7, v7, v9 :: v_dual_cndmask_b32 v4, v4, v8
	v_cmp_le_u32_e32 vcc_lo, s20, v7
	s_delay_alu instid0(VALU_DEP_2) | instskip(SKIP_1) | instid1(VALU_DEP_1)
	v_add_nc_u32_e32 v8, 1, v4
	s_wait_alu 0xfffd
	v_dual_cndmask_b32 v7, v4, v8 :: v_dual_mov_b32 v8, v3
.LBB0_6:                                ;   in Loop: Header=BB0_2 Depth=1
	s_wait_alu 0xfffe
	s_or_b32 exec_lo, exec_lo, s2
	s_load_b64 s[22:23], s[14:15], 0x0
	s_delay_alu instid0(VALU_DEP_1)
	v_mul_lo_u32 v4, v8, s20
	v_mul_lo_u32 v11, v7, s21
	v_mad_co_u64_u32 v[9:10], null, v7, s20, 0
	s_add_nc_u64 s[16:17], s[16:17], 1
	s_add_nc_u64 s[14:15], s[14:15], 8
	s_wait_alu 0xfffe
	v_cmp_ge_u64_e64 s2, s[16:17], s[6:7]
	s_add_nc_u64 s[18:19], s[18:19], 8
	s_delay_alu instid0(VALU_DEP_2) | instskip(NEXT) | instid1(VALU_DEP_3)
	v_add3_u32 v4, v10, v11, v4
	v_sub_co_u32 v5, vcc_lo, v5, v9
	s_wait_alu 0xfffd
	s_delay_alu instid0(VALU_DEP_2) | instskip(SKIP_3) | instid1(VALU_DEP_2)
	v_sub_co_ci_u32_e32 v4, vcc_lo, v6, v4, vcc_lo
	s_and_b32 vcc_lo, exec_lo, s2
	s_wait_kmcnt 0x0
	v_mul_lo_u32 v6, s23, v5
	v_mul_lo_u32 v4, s22, v4
	v_mad_co_u64_u32 v[1:2], null, s22, v5, v[1:2]
	s_delay_alu instid0(VALU_DEP_1)
	v_add3_u32 v2, v6, v2, v4
	s_wait_alu 0xfffe
	s_cbranch_vccnz .LBB0_9
; %bb.7:                                ;   in Loop: Header=BB0_2 Depth=1
	v_dual_mov_b32 v5, v7 :: v_dual_mov_b32 v6, v8
	s_branch .LBB0_2
.LBB0_8:
	v_dual_mov_b32 v8, v6 :: v_dual_mov_b32 v7, v5
.LBB0_9:
	s_lshl_b64 s[2:3], s[6:7], 3
	v_mul_hi_u32 v3, 0x1e573ad, v0
	s_wait_alu 0xfffe
	s_add_nc_u64 s[2:3], s[12:13], s[2:3]
	s_load_b64 s[0:1], s[0:1], 0x20
	s_load_b64 s[2:3], s[2:3], 0x0
                                        ; implicit-def: $vgpr203
                                        ; implicit-def: $vgpr202
                                        ; implicit-def: $vgpr207
                                        ; implicit-def: $vgpr204
                                        ; implicit-def: $vgpr205
                                        ; implicit-def: $vgpr206
                                        ; implicit-def: $vgpr208
                                        ; implicit-def: $vgpr209
                                        ; implicit-def: $vgpr210
	s_delay_alu instid0(VALU_DEP_1) | instskip(NEXT) | instid1(VALU_DEP_1)
	v_mul_u32_u24_e32 v3, 0x87, v3
	v_sub_nc_u32_e32 v185, v0, v3
	s_delay_alu instid0(VALU_DEP_1)
	v_add_nc_u32_e32 v193, 0x87, v185
	v_add_nc_u32_e32 v191, 0x10e, v185
	;; [unrolled: 1-line block ×4, first 2 shown]
	s_wait_kmcnt 0x0
	v_cmp_gt_u64_e32 vcc_lo, s[0:1], v[7:8]
	v_mul_lo_u32 v3, s2, v8
	v_mul_lo_u32 v4, s3, v7
	v_mad_co_u64_u32 v[0:1], null, s2, v7, v[1:2]
	v_cmp_le_u64_e64 s0, s[0:1], v[7:8]
	v_add_nc_u32_e32 v190, 0x21c, v185
	v_add_nc_u32_e32 v189, 0x2a3, v185
	;; [unrolled: 1-line block ×5, first 2 shown]
	v_add3_u32 v1, v4, v1, v3
	s_and_saveexec_b32 s1, s0
	s_wait_alu 0xfffe
	s_xor_b32 s0, exec_lo, s1
; %bb.10:
	v_add_nc_u32_e32 v203, 0x87, v185
	v_add_nc_u32_e32 v202, 0x10e, v185
	v_add_nc_u32_e32 v207, 0x32a, v185
	v_add_nc_u32_e32 v204, 0x195, v185
	v_add_nc_u32_e32 v205, 0x21c, v185
	v_add_nc_u32_e32 v206, 0x2a3, v185
	v_add_nc_u32_e32 v208, 0x3b1, v185
	v_add_nc_u32_e32 v209, 0x438, v185
	v_add_nc_u32_e32 v210, 0x4bf, v185
; %bb.11:
	s_wait_alu 0xfffe
	s_or_saveexec_b32 s1, s0
	v_lshlrev_b64_e32 v[148:149], 4, v[0:1]
	v_add_nc_u32_e32 v198, 0xb13, v185
	v_add_nc_u32_e32 v255, 0xca8, v185
	;; [unrolled: 1-line block ×7, first 2 shown]
                                        ; implicit-def: $vgpr2_vgpr3
                                        ; implicit-def: $vgpr6_vgpr7
                                        ; implicit-def: $vgpr10_vgpr11
                                        ; implicit-def: $vgpr14_vgpr15
                                        ; implicit-def: $vgpr22_vgpr23
                                        ; implicit-def: $vgpr30_vgpr31
                                        ; implicit-def: $vgpr38_vgpr39
                                        ; implicit-def: $vgpr26_vgpr27
                                        ; implicit-def: $vgpr34_vgpr35
                                        ; implicit-def: $vgpr42_vgpr43
                                        ; implicit-def: $vgpr18_vgpr19
                                        ; implicit-def: $vgpr50_vgpr51
                                        ; implicit-def: $vgpr46_vgpr47
                                        ; implicit-def: $vgpr62_vgpr63
                                        ; implicit-def: $vgpr54_vgpr55
                                        ; implicit-def: $vgpr70_vgpr71
                                        ; implicit-def: $vgpr58_vgpr59
                                        ; implicit-def: $vgpr66_vgpr67
                                        ; implicit-def: $vgpr74_vgpr75
                                        ; implicit-def: $vgpr78_vgpr79
                                        ; implicit-def: $vgpr82_vgpr83
                                        ; implicit-def: $vgpr86_vgpr87
                                        ; implicit-def: $vgpr90_vgpr91
                                        ; implicit-def: $vgpr94_vgpr95
                                        ; implicit-def: $vgpr114_vgpr115
                                        ; implicit-def: $vgpr118_vgpr119
                                        ; implicit-def: $vgpr106_vgpr107
                                        ; implicit-def: $vgpr110_vgpr111
                                        ; implicit-def: $vgpr98_vgpr99
                                        ; implicit-def: $vgpr102_vgpr103
	s_wait_alu 0xfffe
	s_xor_b32 exec_lo, exec_lo, s1
	s_cbranch_execz .LBB0_13
; %bb.12:
	v_mad_co_u64_u32 v[0:1], null, s8, v185, 0
	v_mad_co_u64_u32 v[2:3], null, s8, v192, 0
	;; [unrolled: 1-line block ×3, first 2 shown]
	v_add_co_u32 v18, s0, s10, v148
	s_wait_alu 0xf1ff
	v_add_co_ci_u32_e64 v19, s0, s11, v149, s0
	s_delay_alu instid0(VALU_DEP_4) | instskip(SKIP_4) | instid1(VALU_DEP_4)
	v_mad_co_u64_u32 v[6:7], null, s9, v185, v[1:2]
	v_mad_co_u64_u32 v[7:8], null, s8, v182, 0
	;; [unrolled: 1-line block ×3, first 2 shown]
	v_add_nc_u32_e32 v14, 0x654, v185
	v_mad_co_u64_u32 v[20:21], null, s8, v198, 0
	v_dual_mov_b32 v1, v6 :: v_dual_mov_b32 v6, v8
	s_delay_alu instid0(VALU_DEP_3) | instskip(SKIP_1) | instid1(VALU_DEP_3)
	v_mad_co_u64_u32 v[10:11], null, s8, v14, 0
	v_mov_b32_e32 v3, v9
	v_lshlrev_b64_e32 v[0:1], 4, v[0:1]
	s_delay_alu instid0(VALU_DEP_4) | instskip(SKIP_1) | instid1(VALU_DEP_4)
	v_mad_co_u64_u32 v[8:9], null, s9, v186, v[5:6]
	v_mad_co_u64_u32 v[12:13], null, s9, v182, v[6:7]
	v_lshlrev_b64_e32 v[2:3], 4, v[2:3]
	v_dual_mov_b32 v6, v11 :: v_dual_add_nc_u32 v9, 0x7e9, v185
	v_add_co_u32 v0, s0, v18, v0
	s_delay_alu instid0(VALU_DEP_4) | instskip(NEXT) | instid1(VALU_DEP_3)
	v_dual_mov_b32 v5, v8 :: v_dual_mov_b32 v8, v12
	v_mad_co_u64_u32 v[12:13], null, s8, v9, 0
	v_add_nc_u32_e32 v17, 0x97e, v185
	v_mad_co_u64_u32 v[14:15], null, s9, v14, v[6:7]
	s_delay_alu instid0(VALU_DEP_4)
	v_lshlrev_b64_e32 v[6:7], 4, v[7:8]
	v_lshlrev_b64_e32 v[4:5], 4, v[4:5]
	s_wait_alu 0xf1ff
	v_add_co_ci_u32_e64 v1, s0, v19, v1, s0
	v_mov_b32_e32 v8, v13
	v_mad_co_u64_u32 v[15:16], null, s8, v17, 0
	v_mov_b32_e32 v11, v14
	v_add_co_u32 v2, s0, v18, v2
	s_delay_alu instid0(VALU_DEP_4) | instskip(NEXT) | instid1(VALU_DEP_4)
	v_mad_co_u64_u32 v[8:9], null, s9, v9, v[8:9]
	v_dual_mov_b32 v9, v16 :: v_dual_add_nc_u32 v26, 0xe3d, v185
	s_wait_alu 0xf1ff
	v_add_co_ci_u32_e64 v3, s0, v19, v3, s0
	v_add_co_u32 v4, s0, v18, v4
	v_lshlrev_b64_e32 v[10:11], 4, v[10:11]
	s_wait_alu 0xf1ff
	v_add_co_ci_u32_e64 v5, s0, v19, v5, s0
	v_add_co_u32 v6, s0, v18, v6
	v_mad_co_u64_u32 v[24:25], null, s8, v26, 0
	v_mov_b32_e32 v13, v8
	s_wait_alu 0xf1ff
	v_add_co_ci_u32_e64 v7, s0, v19, v7, s0
	v_add_co_u32 v8, s0, v18, v10
	v_mad_co_u64_u32 v[16:17], null, s9, v17, v[9:10]
	s_wait_alu 0xf1ff
	v_add_co_ci_u32_e64 v9, s0, v19, v11, s0
	v_lshlrev_b64_e32 v[10:11], 4, v[12:13]
	v_mov_b32_e32 v12, v21
	v_mad_co_u64_u32 v[22:23], null, s8, v255, 0
	v_add_nc_u32_e32 v41, 0xa05, v185
	v_add_nc_u32_e32 v38, 0x870, v185
	s_delay_alu instid0(VALU_DEP_4)
	v_mad_co_u64_u32 v[12:13], null, s9, v198, v[12:13]
	v_lshlrev_b64_e32 v[13:14], 4, v[15:16]
	v_add_co_u32 v10, s0, v18, v10
	v_mov_b32_e32 v15, v23
	s_wait_alu 0xf1ff
	v_add_co_ci_u32_e64 v11, s0, v19, v11, s0
	v_mov_b32_e32 v21, v12
	v_add_co_u32 v12, s0, v18, v13
	v_mad_co_u64_u32 v[15:16], null, s9, v255, v[15:16]
	s_delay_alu instid0(VALU_DEP_3)
	v_lshlrev_b64_e32 v[16:17], 4, v[20:21]
	s_wait_alu 0xf1ff
	v_add_co_ci_u32_e64 v13, s0, v19, v14, s0
	v_mov_b32_e32 v14, v25
	v_mad_co_u64_u32 v[20:21], null, s8, v193, 0
	v_mov_b32_e32 v23, v15
	v_mad_co_u64_u32 v[36:37], null, s8, v41, 0
	s_delay_alu instid0(VALU_DEP_4)
	v_mad_co_u64_u32 v[25:26], null, s9, v26, v[14:15]
	v_add_co_u32 v14, s0, v18, v16
	s_wait_alu 0xf1ff
	v_add_co_ci_u32_e64 v15, s0, v19, v17, s0
	v_lshlrev_b64_e32 v[16:17], 4, v[22:23]
	v_mad_co_u64_u32 v[22:23], null, s8, v190, 0
	v_lshlrev_b64_e32 v[24:25], 4, v[24:25]
	v_add_nc_u32_e32 v47, 0xec4, v185
	v_add_nc_u32_e32 v56, 0xc21, v185
	v_add_co_u32 v16, s0, v18, v16
	s_wait_alu 0xf1ff
	v_add_co_ci_u32_e64 v17, s0, v19, v17, s0
	v_mad_co_u64_u32 v[26:27], null, s9, v193, v[21:22]
	v_mad_co_u64_u32 v[27:28], null, s8, v184, 0
	;; [unrolled: 1-line block ×3, first 2 shown]
	v_add_co_u32 v24, s0, v18, v24
	v_mad_co_u64_u32 v[30:31], null, s8, v200, 0
	s_delay_alu instid0(VALU_DEP_4) | instskip(SKIP_3) | instid1(VALU_DEP_3)
	v_mov_b32_e32 v23, v28
	s_wait_alu 0xf1ff
	v_add_co_ci_u32_e64 v25, s0, v19, v25, s0
	v_mad_co_u64_u32 v[43:44], null, s8, v47, 0
	v_mad_co_u64_u32 v[32:33], null, s9, v184, v[23:24]
	v_dual_mov_b32 v23, v29 :: v_dual_mov_b32 v210, v182
	v_mov_b32_e32 v208, v184
	v_mov_b32_e32 v206, v189
	;; [unrolled: 1-line block ×3, first 2 shown]
	s_delay_alu instid0(VALU_DEP_4)
	v_lshlrev_b64_e32 v[22:23], 4, v[22:23]
	v_mov_b32_e32 v28, v32
	v_mad_co_u64_u32 v[32:33], null, s8, v196, 0
	v_dual_mov_b32 v21, v26 :: v_dual_mov_b32 v26, v31
	v_dual_mov_b32 v202, v191 :: v_dual_add_nc_u32 v55, 0xa8c, v185
	v_add_nc_u32_e32 v57, 0xf4b, v185
	v_mov_b32_e32 v209, v183
	s_delay_alu instid0(VALU_DEP_4)
	v_mad_co_u64_u32 v[34:35], null, s9, v200, v[26:27]
	v_lshlrev_b64_e32 v[26:27], 4, v[27:28]
	v_mov_b32_e32 v28, v33
	v_lshlrev_b64_e32 v[20:21], 4, v[20:21]
	v_mov_b32_e32 v205, v190
	v_mov_b32_e32 v207, v186
	v_mov_b32_e32 v203, v193
	v_mov_b32_e32 v31, v34
	v_mad_co_u64_u32 v[34:35], null, s8, v38, 0
	v_mad_co_u64_u32 v[28:29], null, s9, v196, v[28:29]
	v_add_co_u32 v20, s0, v18, v20
	s_delay_alu instid0(VALU_DEP_4)
	v_lshlrev_b64_e32 v[29:30], 4, v[30:31]
	s_wait_alu 0xf1ff
	v_add_co_ci_u32_e64 v21, s0, v19, v21, s0
	v_mov_b32_e32 v31, v35
	v_add_co_u32 v22, s0, v18, v22
	s_wait_alu 0xf1ff
	v_add_co_ci_u32_e64 v23, s0, v19, v23, s0
	v_mov_b32_e32 v33, v28
	v_add_co_u32 v26, s0, v18, v26
	v_mad_co_u64_u32 v[38:39], null, s9, v38, v[31:32]
	s_wait_alu 0xf1ff
	v_add_co_ci_u32_e64 v27, s0, v19, v27, s0
	v_add_co_u32 v28, s0, v18, v29
	v_lshlrev_b64_e32 v[31:32], 4, v[32:33]
	s_wait_alu 0xf1ff
	v_add_co_ci_u32_e64 v29, s0, v19, v30, s0
	v_mov_b32_e32 v30, v37
	v_mad_co_u64_u32 v[39:40], null, s8, v199, 0
	v_dual_mov_b32 v35, v38 :: v_dual_add_nc_u32 v38, 0xd2f, v185
	s_delay_alu instid0(VALU_DEP_3) | instskip(SKIP_4) | instid1(VALU_DEP_4)
	v_mad_co_u64_u32 v[41:42], null, s9, v41, v[30:31]
	v_add_co_u32 v30, s0, v18, v31
	s_wait_alu 0xf1ff
	v_add_co_ci_u32_e64 v31, s0, v19, v32, s0
	v_lshlrev_b64_e32 v[32:33], 4, v[34:35]
	v_dual_mov_b32 v34, v40 :: v_dual_mov_b32 v37, v41
	v_mad_co_u64_u32 v[41:42], null, s8, v38, 0
	s_delay_alu instid0(VALU_DEP_2) | instskip(NEXT) | instid1(VALU_DEP_3)
	v_mad_co_u64_u32 v[34:35], null, s9, v199, v[34:35]
	v_lshlrev_b64_e32 v[36:37], 4, v[36:37]
	v_add_co_u32 v32, s0, v18, v32
	s_delay_alu instid0(VALU_DEP_4)
	v_mov_b32_e32 v35, v42
	s_wait_alu 0xf1ff
	v_add_co_ci_u32_e64 v33, s0, v19, v33, s0
	v_mov_b32_e32 v40, v34
	v_add_co_u32 v34, s0, v18, v36
	v_mad_co_u64_u32 v[45:46], null, s9, v38, v[35:36]
	s_wait_alu 0xf1ff
	v_add_co_ci_u32_e64 v35, s0, v19, v37, s0
	v_lshlrev_b64_e32 v[36:37], 4, v[39:40]
	v_mad_co_u64_u32 v[39:40], null, s8, v191, 0
	v_mov_b32_e32 v38, v44
	v_mov_b32_e32 v42, v45
	s_delay_alu instid0(VALU_DEP_4)
	v_add_co_u32 v36, s0, v18, v36
	s_wait_alu 0xf1ff
	v_add_co_ci_u32_e64 v37, s0, v19, v37, s0
	v_mad_co_u64_u32 v[44:45], null, s9, v47, v[38:39]
	v_mov_b32_e32 v38, v40
	v_mad_co_u64_u32 v[45:46], null, s8, v189, 0
	v_lshlrev_b64_e32 v[41:42], 4, v[41:42]
	s_delay_alu instid0(VALU_DEP_3) | instskip(SKIP_2) | instid1(VALU_DEP_4)
	v_mad_co_u64_u32 v[47:48], null, s9, v191, v[38:39]
	v_lshlrev_b64_e32 v[43:44], 4, v[43:44]
	v_mad_co_u64_u32 v[48:49], null, s8, v183, 0
	v_add_co_u32 v41, s0, v18, v41
	v_mov_b32_e32 v38, v46
	v_mov_b32_e32 v40, v47
	s_wait_alu 0xf1ff
	v_add_co_ci_u32_e64 v42, s0, v19, v42, s0
	v_add_co_u32 v120, s0, v18, v43
	v_mad_co_u64_u32 v[50:51], null, s9, v189, v[38:39]
	s_wait_alu 0xf1ff
	v_add_co_ci_u32_e64 v121, s0, v19, v44, s0
	v_mad_co_u64_u32 v[43:44], null, s8, v201, 0
	v_lshlrev_b64_e32 v[38:39], 4, v[39:40]
	v_mov_b32_e32 v40, v49
	v_mov_b32_e32 v46, v50
	s_delay_alu instid0(VALU_DEP_2) | instskip(SKIP_3) | instid1(VALU_DEP_3)
	v_mad_co_u64_u32 v[49:50], null, s9, v183, v[40:41]
	v_mov_b32_e32 v40, v44
	v_mad_co_u64_u32 v[50:51], null, s8, v197, 0
	v_add_co_u32 v38, s0, v18, v38
	v_mad_co_u64_u32 v[52:53], null, s9, v201, v[40:41]
	v_add_nc_u32_e32 v53, 0x8f7, v185
	v_lshlrev_b64_e32 v[45:46], 4, v[45:46]
	v_mov_b32_e32 v40, v51
	s_wait_alu 0xf1ff
	v_add_co_ci_u32_e64 v39, s0, v19, v39, s0
	v_mov_b32_e32 v44, v52
	s_delay_alu instid0(VALU_DEP_4)
	v_add_co_u32 v122, s0, v18, v45
	s_wait_alu 0xf1ff
	v_add_co_ci_u32_e64 v123, s0, v19, v46, s0
	v_lshlrev_b64_e32 v[45:46], 4, v[48:49]
	v_mad_co_u64_u32 v[47:48], null, s9, v197, v[40:41]
	v_mad_co_u64_u32 v[48:49], null, s8, v53, 0
	s_delay_alu instid0(VALU_DEP_3) | instskip(SKIP_1) | instid1(VALU_DEP_4)
	v_add_co_u32 v124, s0, v18, v45
	s_wait_alu 0xf1ff
	v_add_co_ci_u32_e64 v125, s0, v19, v46, s0
	v_mad_co_u64_u32 v[45:46], null, s8, v55, 0
	s_delay_alu instid0(VALU_DEP_4) | instskip(NEXT) | instid1(VALU_DEP_1)
	v_dual_mov_b32 v40, v49 :: v_dual_mov_b32 v51, v47
	v_mad_co_u64_u32 v[52:53], null, s9, v53, v[40:41]
	v_mad_co_u64_u32 v[53:54], null, s8, v56, 0
	s_delay_alu instid0(VALU_DEP_2) | instskip(SKIP_2) | instid1(VALU_DEP_3)
	v_dual_mov_b32 v40, v46 :: v_dual_mov_b32 v49, v52
	v_lshlrev_b64_e32 v[43:44], 4, v[43:44]
	v_add_nc_u32_e32 v52, 0xdb6, v185
	v_mad_co_u64_u32 v[46:47], null, s9, v55, v[40:41]
	v_mov_b32_e32 v40, v54
	s_delay_alu instid0(VALU_DEP_4)
	v_add_co_u32 v126, s0, v18, v43
	s_wait_alu 0xf1ff
	v_add_co_ci_u32_e64 v127, s0, v19, v44, s0
	v_lshlrev_b64_e32 v[43:44], 4, v[50:51]
	v_mad_co_u64_u32 v[50:51], null, s8, v52, 0
	v_mad_co_u64_u32 v[54:55], null, s9, v56, v[40:41]
	;; [unrolled: 1-line block ×3, first 2 shown]
	s_delay_alu instid0(VALU_DEP_4) | instskip(NEXT) | instid1(VALU_DEP_4)
	v_add_co_u32 v128, s0, v18, v43
	v_mov_b32_e32 v40, v51
	s_wait_alu 0xf1ff
	v_add_co_ci_u32_e64 v129, s0, v19, v44, s0
	v_lshlrev_b64_e32 v[43:44], 4, v[48:49]
	s_delay_alu instid0(VALU_DEP_3) | instskip(SKIP_2) | instid1(VALU_DEP_4)
	v_mad_co_u64_u32 v[47:48], null, s9, v52, v[40:41]
	v_mov_b32_e32 v40, v56
	v_lshlrev_b64_e32 v[48:49], 4, v[53:54]
	v_add_co_u32 v130, s0, v18, v43
	s_wait_alu 0xf1ff
	v_add_co_ci_u32_e64 v131, s0, v19, v44, s0
	v_lshlrev_b64_e32 v[43:44], 4, v[45:46]
	v_mad_co_u64_u32 v[45:46], null, s9, v57, v[40:41]
	v_mov_b32_e32 v51, v47
	s_delay_alu instid0(VALU_DEP_3) | instskip(SKIP_1) | instid1(VALU_DEP_4)
	v_add_co_u32 v132, s0, v18, v43
	s_wait_alu 0xf1ff
	v_add_co_ci_u32_e64 v133, s0, v19, v44, s0
	s_delay_alu instid0(VALU_DEP_4)
	v_mov_b32_e32 v56, v45
	v_lshlrev_b64_e32 v[43:44], 4, v[50:51]
	v_add_co_u32 v134, s0, v18, v48
	s_wait_alu 0xf1ff
	v_add_co_ci_u32_e64 v135, s0, v19, v49, s0
	v_lshlrev_b64_e32 v[45:46], 4, v[55:56]
	s_delay_alu instid0(VALU_DEP_4) | instskip(SKIP_2) | instid1(VALU_DEP_3)
	v_add_co_u32 v136, s0, v18, v43
	s_wait_alu 0xf1ff
	v_add_co_ci_u32_e64 v137, s0, v19, v44, s0
	v_add_co_u32 v138, s0, v18, v45
	s_wait_alu 0xf1ff
	v_add_co_ci_u32_e64 v139, s0, v19, v46, s0
	s_clause 0x1d
	global_load_b128 v[100:103], v[0:1], off
	global_load_b128 v[96:99], v[2:3], off
	;; [unrolled: 1-line block ×30, first 2 shown]
.LBB0_13:
	s_or_b32 exec_lo, exec_lo, s1
	s_wait_loadcnt 0x1b
	v_add_f64_e32 v[120:121], v[108:109], v[100:101]
	v_add_f64_e32 v[122:123], v[110:111], v[102:103]
	s_wait_loadcnt 0x1a
	v_add_f64_e32 v[124:125], v[104:105], v[96:97]
	v_add_f64_e32 v[126:127], v[106:107], v[98:99]
	;; [unrolled: 3-line block ×3, first 2 shown]
	s_wait_loadcnt 0x16
	v_add_f64_e32 v[140:141], v[90:91], v[114:115]
	s_wait_loadcnt 0x15
	v_add_f64_e32 v[130:131], v[84:85], v[108:109]
	v_add_f64_e32 v[134:135], v[86:87], v[110:111]
	;; [unrolled: 1-line block ×3, first 2 shown]
	s_wait_loadcnt 0x14
	v_add_f64_e32 v[138:139], v[80:81], v[104:105]
	v_add_f64_e32 v[142:143], v[82:83], v[106:107]
	v_add_f64_e64 v[146:147], v[108:109], -v[116:117]
	v_add_f64_e64 v[152:153], v[116:117], -v[108:109]
	;; [unrolled: 1-line block ×12, first 2 shown]
	s_wait_loadcnt 0xd
	v_add_f64_e32 v[174:175], v[60:61], v[68:69]
	v_add_f64_e64 v[176:177], v[106:107], -v[114:115]
	v_add_f64_e64 v[178:179], v[114:115], -v[106:107]
	s_wait_loadcnt 0xb
	v_add_f64_e32 v[211:212], v[48:49], v[64:65]
	v_add_f64_e64 v[110:111], v[110:111], -v[86:87]
	v_add_f64_e64 v[104:105], v[104:105], -v[80:81]
	v_add_f64_e64 v[150:151], v[84:85], -v[92:93]
	v_add_f64_e64 v[164:165], v[94:95], -v[86:87]
	v_add_f64_e64 v[180:181], v[80:81], -v[88:89]
	v_add_f64_e64 v[108:109], v[108:109], -v[84:85]
	v_add_f64_e64 v[106:107], v[106:107], -v[82:83]
	v_add_f64_e32 v[215:216], v[64:65], v[76:77]
	v_add_f64_e32 v[219:220], v[46:47], v[54:55]
	s_mov_b32 s6, 0x134454ff
	v_add_f64_e32 v[116:117], v[116:117], v[120:121]
	v_add_f64_e32 v[118:119], v[118:119], v[122:123]
	;; [unrolled: 1-line block ×4, first 2 shown]
	v_fma_f64 v[120:121], v[128:129], -0.5, v[100:101]
	v_fma_f64 v[128:129], v[132:133], -0.5, v[102:103]
	;; [unrolled: 1-line block ×8, first 2 shown]
	v_add_f64_e64 v[122:123], v[88:89], -v[80:81]
	s_mov_b32 s7, 0xbfee6f0e
	s_mov_b32 s13, 0x3fee6f0e
	s_wait_alu 0xfffe
	s_mov_b32 s12, s6
	v_add_f64_e64 v[124:125], v[82:83], -v[90:91]
	v_add_f64_e64 v[126:127], v[90:91], -v[82:83]
	;; [unrolled: 1-line block ×3, first 2 shown]
	v_add_f64_e32 v[152:153], v[154:155], v[152:153]
	v_add_f64_e32 v[154:155], v[162:163], v[158:159]
	v_add_f64_e64 v[134:135], v[66:67], -v[50:51]
	v_add_f64_e32 v[142:143], v[62:63], v[70:71]
	v_add_f64_e32 v[213:214], v[50:51], v[66:67]
	v_fma_f64 v[174:175], v[174:175], -0.5, v[76:77]
	v_add_f64_e32 v[217:218], v[66:67], v[78:79]
	s_wait_loadcnt 0xa
	v_add_f64_e64 v[225:226], v[56:57], -v[16:17]
	v_fma_f64 v[76:77], v[211:212], -0.5, v[76:77]
	v_add_f64_e32 v[211:212], v[16:17], v[56:57]
	s_mov_b32 s0, 0x4755a5e
	v_add_f64_e32 v[146:147], v[150:151], v[146:147]
	v_add_f64_e32 v[160:161], v[164:165], v[160:161]
	;; [unrolled: 1-line block ×3, first 2 shown]
	s_mov_b32 s1, 0xbfe2cf23
	s_mov_b32 s3, 0x3fe2cf23
	s_wait_alu 0xfffe
	s_mov_b32 s2, s0
	v_add_f64_e64 v[140:141], v[64:65], -v[68:69]
	v_add_f64_e64 v[221:222], v[68:69], -v[64:65]
	v_add_f64_e32 v[92:93], v[92:93], v[116:117]
	v_add_f64_e32 v[94:95], v[94:95], v[118:119]
	;; [unrolled: 1-line block ×4, first 2 shown]
	v_fma_f64 v[112:113], v[110:111], s[6:7], v[120:121]
	v_fma_f64 v[114:115], v[110:111], s[12:13], v[120:121]
	;; [unrolled: 1-line block ×4, first 2 shown]
	v_add_f64_e32 v[118:119], v[44:45], v[52:53]
	v_fma_f64 v[100:101], v[144:145], s[6:7], v[100:101]
	v_add_f64_e32 v[120:121], v[18:19], v[58:59]
	v_fma_f64 v[227:228], v[108:109], s[12:13], v[128:129]
	v_fma_f64 v[128:129], v[108:109], s[6:7], v[128:129]
	;; [unrolled: 1-line block ×11, first 2 shown]
	v_add_f64_e32 v[122:123], v[122:123], v[170:171]
	v_fma_f64 v[170:171], v[219:220], -0.5, v[74:75]
	v_add_f64_e32 v[124:125], v[124:125], v[176:177]
	v_add_f64_e32 v[126:127], v[126:127], v[178:179]
	v_fma_f64 v[176:177], v[134:135], s[6:7], v[174:175]
	v_fma_f64 v[178:179], v[136:137], s[12:13], v[76:77]
	;; [unrolled: 1-line block ×4, first 2 shown]
	v_add_f64_e64 v[138:139], v[48:49], -v[60:61]
	v_add_f64_e64 v[223:224], v[60:61], -v[48:49]
	;; [unrolled: 1-line block ×3, first 2 shown]
	s_mov_b32 s14, 0x372fe950
	s_mov_b32 s15, 0x3fd3c6ef
	;; [unrolled: 1-line block ×5, first 2 shown]
	v_add_f64_e32 v[84:85], v[84:85], v[92:93]
	v_add_f64_e32 v[92:93], v[68:69], v[215:216]
	;; [unrolled: 1-line block ×5, first 2 shown]
	v_fma_f64 v[82:83], v[144:145], s[0:1], v[112:113]
	s_wait_alu 0xfffe
	v_fma_f64 v[88:89], v[144:145], s[2:3], v[114:115]
	v_fma_f64 v[144:145], v[172:173], s[2:3], v[158:159]
	;; [unrolled: 1-line block ×4, first 2 shown]
	v_fma_f64 v[110:111], v[142:143], -0.5, v[78:79]
	v_fma_f64 v[112:113], v[156:157], s[2:3], v[227:228]
	v_fma_f64 v[114:115], v[156:157], s[0:1], v[128:129]
	;; [unrolled: 1-line block ×4, first 2 shown]
	v_fma_f64 v[108:109], v[118:119], -0.5, v[72:73]
	v_add_f64_e64 v[118:119], v[58:59], -v[18:19]
	v_fma_f64 v[128:129], v[166:167], s[0:1], v[150:151]
	v_fma_f64 v[120:121], v[120:121], -0.5, v[74:75]
	v_fma_f64 v[78:79], v[213:214], -0.5, v[78:79]
	v_add_f64_e64 v[68:69], v[68:69], -v[60:61]
	v_fma_f64 v[150:151], v[104:105], s[2:3], v[164:165]
	v_fma_f64 v[156:157], v[106:107], s[0:1], v[168:169]
	;; [unrolled: 1-line block ×4, first 2 shown]
	v_add_f64_e32 v[132:133], v[56:57], v[72:73]
	v_add_f64_e64 v[158:159], v[54:55], -v[46:47]
	v_add_f64_e32 v[74:75], v[58:59], v[74:75]
	v_fma_f64 v[72:73], v[211:212], -0.5, v[72:73]
	v_fma_f64 v[98:99], v[104:105], s[0:1], v[98:99]
	v_add_f64_e32 v[100:101], v[70:71], v[217:218]
	v_add_f64_e64 v[142:143], v[52:53], -v[44:45]
	v_fma_f64 v[130:131], v[166:167], s[2:3], v[130:131]
	v_add_f64_e64 v[164:165], v[58:59], -v[54:55]
	v_add_f64_e64 v[166:167], v[18:19], -v[46:47]
	v_fma_f64 v[168:169], v[225:226], s[12:13], v[170:171]
	s_wait_loadcnt 0x0
	v_add_f64_e32 v[217:218], v[2:3], v[38:39]
	v_fma_f64 v[104:105], v[136:137], s[0:1], v[176:177]
	v_fma_f64 v[136:137], v[136:137], s[2:3], v[174:175]
	v_add_f64_e32 v[60:61], v[60:61], v[92:93]
	v_add_f64_e64 v[92:93], v[66:67], -v[70:71]
	v_add_f64_e64 v[66:67], v[70:71], -v[66:67]
	v_add_f64_e32 v[70:71], v[10:11], v[22:23]
	v_fma_f64 v[172:173], v[134:135], s[0:1], v[178:179]
	v_add_f64_e64 v[174:175], v[50:51], -v[62:63]
	v_fma_f64 v[144:145], v[124:125], s[14:15], v[144:145]
	v_add_f64_e64 v[178:179], v[56:57], -v[52:53]
	v_add_f64_e64 v[58:59], v[54:55], -v[58:59]
	;; [unrolled: 1-line block ×3, first 2 shown]
	v_fma_f64 v[134:135], v[134:135], s[2:3], v[180:181]
	v_fma_f64 v[176:177], v[64:65], s[12:13], v[110:111]
	;; [unrolled: 1-line block ×3, first 2 shown]
	v_add_f64_e64 v[180:181], v[16:17], -v[44:45]
	v_fma_f64 v[82:83], v[146:147], s[14:15], v[82:83]
	v_fma_f64 v[211:212], v[118:119], s[6:7], v[108:109]
	;; [unrolled: 1-line block ×10, first 2 shown]
	v_add_f64_e32 v[52:53], v[52:53], v[132:133]
	v_fma_f64 v[132:133], v[225:226], s[6:7], v[170:171]
	v_add_f64_e32 v[54:55], v[54:55], v[74:75]
	v_fma_f64 v[74:75], v[158:159], s[12:13], v[72:73]
	v_fma_f64 v[72:73], v[158:159], s[6:7], v[72:73]
	v_fma_f64 v[98:99], v[126:127], s[14:15], v[98:99]
	v_add_f64_e32 v[126:127], v[8:9], v[20:21]
	v_add_f64_e32 v[170:171], v[0:1], v[36:37]
	;; [unrolled: 1-line block ×3, first 2 shown]
	v_add_f64_e64 v[62:63], v[62:63], -v[50:51]
	v_add_f64_e32 v[124:125], v[166:167], v[164:165]
	v_fma_f64 v[164:165], v[142:143], s[2:3], v[168:169]
	v_fma_f64 v[130:131], v[162:163], s[14:15], v[130:131]
	;; [unrolled: 1-line block ×3, first 2 shown]
	v_add_f64_e32 v[122:123], v[48:49], v[60:61]
	v_fma_f64 v[162:163], v[217:218], -0.5, v[34:35]
	v_add_f64_e64 v[166:167], v[20:21], -v[8:9]
	v_fma_f64 v[60:61], v[70:71], -0.5, v[34:35]
	v_add_f64_e64 v[70:71], v[36:37], -v[0:1]
	v_add_f64_e64 v[213:214], v[46:47], -v[18:19]
	v_mul_f64_e32 v[168:169], s[0:1], v[144:145]
	v_add_f64_e32 v[138:139], v[138:139], v[140:141]
	v_add_f64_e32 v[140:141], v[223:224], v[221:222]
	v_fma_f64 v[215:216], v[142:143], s[6:7], v[120:121]
	v_add_f64_e64 v[221:222], v[44:45], -v[16:17]
	v_fma_f64 v[120:121], v[142:143], s[12:13], v[120:121]
	v_add_f64_e32 v[48:49], v[174:175], v[92:93]
	v_add_f64_e32 v[92:93], v[180:181], v[178:179]
	v_fma_f64 v[90:91], v[152:153], s[14:15], v[90:91]
	v_fma_f64 v[94:95], v[152:153], s[14:15], v[94:95]
	v_add_f64_e32 v[152:153], v[12:13], v[28:29]
	v_fma_f64 v[112:113], v[154:155], s[14:15], v[112:113]
	v_fma_f64 v[114:115], v[154:155], s[14:15], v[114:115]
	;; [unrolled: 1-line block ×3, first 2 shown]
	v_add_f64_e64 v[154:155], v[38:39], -v[22:23]
	v_fma_f64 v[64:65], v[64:65], s[0:1], v[78:79]
	v_fma_f64 v[78:79], v[158:159], s[2:3], v[108:109]
	v_add_f64_e64 v[178:179], v[22:23], -v[38:39]
	v_add_f64_e32 v[44:45], v[44:45], v[52:53]
	v_add_f64_e64 v[180:181], v[10:11], -v[2:3]
	v_add_f64_e32 v[46:47], v[46:47], v[54:55]
	v_fma_f64 v[52:53], v[118:119], s[0:1], v[74:75]
	v_fma_f64 v[54:55], v[118:119], s[2:3], v[72:73]
	;; [unrolled: 1-line block ×3, first 2 shown]
	v_fma_f64 v[108:109], v[126:127], -0.5, v[32:33]
	v_add_f64_e64 v[118:119], v[38:39], -v[2:3]
	v_fma_f64 v[126:127], v[170:171], -0.5, v[32:33]
	v_add_f64_e64 v[132:133], v[22:23], -v[10:11]
	v_add_f64_e32 v[100:101], v[50:51], v[100:101]
	v_fma_f64 v[50:51], v[68:69], s[2:3], v[176:177]
	v_fma_f64 v[68:69], v[68:69], s[0:1], v[110:111]
	;; [unrolled: 1-line block ×3, first 2 shown]
	v_add_f64_e32 v[62:63], v[62:63], v[66:67]
	v_mul_f64_e32 v[66:67], s[6:7], v[150:151]
	v_fma_f64 v[158:159], v[124:125], s[14:15], v[164:165]
	v_add_f64_e64 v[164:165], v[2:3], -v[10:11]
	v_add_f64_e32 v[170:171], v[4:5], v[24:25]
	v_fma_f64 v[176:177], v[70:71], s[12:13], v[60:61]
	v_fma_f64 v[60:61], v[70:71], s[6:7], v[60:61]
	;; [unrolled: 1-line block ×4, first 2 shown]
	v_add_f64_e32 v[58:59], v[213:214], v[58:59]
	v_fma_f64 v[168:169], v[128:129], s[16:17], v[168:169]
	v_mul_f64_e32 v[128:129], s[2:3], v[128:129]
	v_fma_f64 v[116:117], v[160:161], s[14:15], v[116:117]
	v_fma_f64 v[102:103], v[160:161], s[14:15], v[102:103]
	v_add_f64_e32 v[160:161], v[14:15], v[30:31]
	v_add_f64_e32 v[213:214], v[6:7], v[26:27]
	v_fma_f64 v[156:157], v[225:226], s[2:3], v[215:216]
	v_add_f64_e32 v[56:57], v[221:222], v[56:57]
	v_fma_f64 v[120:121], v[225:226], s[0:1], v[120:121]
	v_add_f64_e64 v[215:216], v[36:37], -v[20:21]
	v_add_f64_e64 v[217:218], v[0:1], -v[8:9]
	;; [unrolled: 1-line block ×4, first 2 shown]
	s_mov_b32 s18, s14
	v_mul_f64_e32 v[74:75], s[6:7], v[98:99]
	v_fma_f64 v[104:105], v[138:139], s[14:15], v[104:105]
	v_fma_f64 v[136:137], v[138:139], s[14:15], v[136:137]
	v_mul_f64_e32 v[98:99], s[18:19], v[98:99]
	v_fma_f64 v[138:139], v[140:141], s[14:15], v[172:173]
	v_add_f64_e64 v[172:173], v[26:27], -v[6:7]
	v_fma_f64 v[152:153], v[152:153], -0.5, v[40:41]
	v_fma_f64 v[219:220], v[118:119], s[6:7], v[108:109]
	v_fma_f64 v[134:135], v[140:141], s[14:15], v[134:135]
	;; [unrolled: 1-line block ×5, first 2 shown]
	s_mov_b32 s21, 0xbfe9e377
	s_mov_b32 s20, s16
	v_mul_f64_e32 v[142:143], s[0:1], v[106:107]
	v_fma_f64 v[66:67], v[146:147], s[14:15], v[66:67]
	v_mul_f64_e32 v[146:147], s[12:13], v[146:147]
	v_add_f64_e32 v[140:141], v[164:165], v[154:155]
	v_add_f64_e64 v[154:155], v[30:31], -v[14:15]
	v_fma_f64 v[164:165], v[170:171], -0.5, v[40:41]
	v_fma_f64 v[170:171], v[166:167], s[2:3], v[176:177]
	v_fma_f64 v[60:61], v[166:167], s[0:1], v[60:61]
	v_add_f64_e32 v[166:167], v[180:181], v[178:179]
	v_fma_f64 v[176:177], v[70:71], s[2:3], v[211:212]
	v_fma_f64 v[70:71], v[70:71], s[0:1], v[162:163]
	s_wait_alu 0xfffe
	v_mul_f64_e32 v[106:107], s[20:21], v[106:107]
	v_add_f64_e32 v[40:41], v[24:25], v[40:41]
	v_add_f64_e32 v[36:37], v[36:37], v[32:33]
	v_fma_f64 v[178:179], v[48:49], s[14:15], v[50:51]
	v_fma_f64 v[180:181], v[48:49], s[14:15], v[68:69]
	;; [unrolled: 1-line block ×3, first 2 shown]
	v_add_f64_e32 v[48:49], v[26:27], v[42:43]
	v_fma_f64 v[128:129], v[160:161], -0.5, v[42:43]
	v_fma_f64 v[42:43], v[213:214], -0.5, v[42:43]
	v_add_f64_e64 v[144:145], v[24:25], -v[4:5]
	v_add_f64_e32 v[213:214], v[38:39], v[34:35]
	v_add_f64_e64 v[160:161], v[28:29], -v[12:13]
	v_add_f64_e32 v[211:212], v[217:218], v[215:216]
	v_add_f64_e32 v[217:218], v[223:224], v[221:222]
	v_fma_f64 v[156:157], v[58:59], s[14:15], v[156:157]
	v_fma_f64 v[74:75], v[96:97], s[18:19], v[74:75]
	;; [unrolled: 1-line block ×4, first 2 shown]
	v_add_f64_e32 v[32:33], v[86:87], v[84:85]
	v_fma_f64 v[72:73], v[124:125], s[14:15], v[72:73]
	v_fma_f64 v[215:216], v[132:133], s[0:1], v[219:220]
	;; [unrolled: 1-line block ×4, first 2 shown]
	v_add_f64_e64 v[124:125], v[24:25], -v[28:29]
	v_fma_f64 v[58:59], v[58:59], s[14:15], v[120:121]
	v_fma_f64 v[120:121], v[172:173], s[12:13], v[152:153]
	v_add_f64_e64 v[223:224], v[28:29], -v[24:25]
	v_add_f64_e64 v[225:226], v[12:13], -v[4:5]
	;; [unrolled: 1-line block ×3, first 2 shown]
	v_fma_f64 v[146:147], v[150:151], s[14:15], v[146:147]
	v_add_f64_e64 v[150:151], v[4:5], -v[12:13]
	v_fma_f64 v[84:85], v[132:133], s[2:3], v[108:109]
	v_fma_f64 v[152:153], v[154:155], s[12:13], v[164:165]
	;; [unrolled: 1-line block ×8, first 2 shown]
	v_add_f64_e32 v[40:41], v[28:29], v[40:41]
	v_add_f64_e32 v[20:21], v[20:21], v[36:37]
	v_fma_f64 v[86:87], v[140:141], s[14:15], v[170:171]
	v_fma_f64 v[60:61], v[140:141], s[14:15], v[60:61]
	;; [unrolled: 1-line block ×3, first 2 shown]
	v_add_f64_e32 v[34:35], v[82:83], v[168:169]
	v_add_f64_e64 v[36:37], v[82:83], -v[168:169]
	v_add_f64_e32 v[48:49], v[30:31], v[48:49]
	v_add_f64_e64 v[82:83], v[26:27], -v[30:31]
	v_add_f64_e64 v[126:127], v[6:7], -v[14:15]
	v_fma_f64 v[130:131], v[144:145], s[12:13], v[128:129]
	v_fma_f64 v[128:129], v[144:145], s[6:7], v[128:129]
	v_add_f64_e32 v[166:167], v[22:23], v[213:214]
	v_add_f64_e64 v[30:31], v[30:31], -v[26:27]
	v_fma_f64 v[132:133], v[160:161], s[6:7], v[42:43]
	v_add_f64_e64 v[140:141], v[14:15], -v[6:7]
	v_fma_f64 v[176:177], v[160:161], s[12:13], v[42:43]
	v_add_f64_e64 v[38:39], v[90:91], -v[66:67]
	v_add_f64_e32 v[26:27], v[90:91], v[66:67]
	v_fma_f64 v[168:169], v[211:212], s[14:15], v[215:216]
	v_fma_f64 v[66:67], v[92:93], s[14:15], v[78:79]
	;; [unrolled: 1-line block ×4, first 2 shown]
	v_mul_f64_e32 v[54:55], s[12:13], v[52:53]
	v_fma_f64 v[56:57], v[154:155], s[0:1], v[98:99]
	v_fma_f64 v[120:121], v[154:155], s[2:3], v[120:121]
	v_mul_f64_e32 v[162:163], s[0:1], v[158:159]
	v_mul_f64_e32 v[50:51], s[6:7], v[156:157]
	;; [unrolled: 1-line block ×3, first 2 shown]
	v_add_f64_e32 v[90:91], v[150:151], v[124:125]
	v_add_f64_e32 v[150:151], v[225:226], v[223:224]
	v_fma_f64 v[124:125], v[172:173], s[0:1], v[152:153]
	v_fma_f64 v[152:153], v[172:173], s[2:3], v[164:165]
	;; [unrolled: 1-line block ×3, first 2 shown]
	v_mul_f64_e32 v[98:99], s[0:1], v[72:73]
	v_mul_f64_e32 v[154:155], s[6:7], v[108:109]
	;; [unrolled: 1-line block ×4, first 2 shown]
	v_add_f64_e32 v[22:23], v[88:89], v[142:143]
	v_add_f64_e32 v[12:13], v[12:13], v[40:41]
	;; [unrolled: 1-line block ×3, first 2 shown]
	v_fma_f64 v[20:21], v[211:212], s[14:15], v[84:85]
	v_mul_f64_e32 v[84:85], s[0:1], v[86:87]
	v_mul_f64_e32 v[172:173], s[0:1], v[60:61]
	v_add_f64_e64 v[42:43], v[88:89], -v[142:143]
	v_add_f64_e32 v[142:143], v[18:19], v[46:47]
	v_add_f64_e32 v[14:15], v[14:15], v[48:49]
	v_mul_f64_e32 v[18:19], s[18:19], v[58:59]
	v_mul_f64_e32 v[58:59], s[20:21], v[72:73]
	v_add_f64_e32 v[72:73], v[126:127], v[82:83]
	v_fma_f64 v[82:83], v[160:161], s[0:1], v[128:129]
	v_add_f64_e32 v[10:11], v[10:11], v[166:167]
	v_mul_f64_e32 v[60:61], s[20:21], v[60:61]
	v_add_f64_e32 v[28:29], v[94:95], v[74:75]
	v_add_f64_e64 v[40:41], v[94:95], -v[74:75]
	v_fma_f64 v[74:75], v[160:161], s[2:3], v[130:131]
	v_fma_f64 v[88:89], v[144:145], s[2:3], v[132:133]
	v_add_f64_e32 v[30:31], v[140:141], v[30:31]
	v_mul_f64_e32 v[94:95], s[2:3], v[168:169]
	v_mul_f64_e32 v[126:127], s[12:13], v[170:171]
	v_fma_f64 v[128:129], v[144:145], s[0:1], v[176:177]
	v_mul_f64_e32 v[70:71], s[18:19], v[70:71]
	v_fma_f64 v[140:141], v[156:157], s[14:15], v[54:55]
	v_add_f64_e32 v[16:17], v[16:17], v[44:45]
	v_fma_f64 v[110:111], v[110:111], s[16:17], v[162:163]
	v_fma_f64 v[130:131], v[52:53], s[14:15], v[50:51]
	;; [unrolled: 1-line block ×7, first 2 shown]
	v_add_f64_e32 v[46:47], v[112:113], v[68:69]
	v_fma_f64 v[98:99], v[66:67], s[20:21], v[98:99]
	v_fma_f64 v[154:155], v[170:171], s[14:15], v[154:155]
	;; [unrolled: 1-line block ×4, first 2 shown]
	v_add_f64_e32 v[48:49], v[116:117], v[146:147]
	v_add_f64_e32 v[150:151], v[4:5], v[12:13]
	;; [unrolled: 1-line block ×3, first 2 shown]
	v_add_f64_e64 v[56:57], v[112:113], -v[68:69]
	v_fma_f64 v[158:159], v[168:169], s[16:17], v[84:85]
	v_fma_f64 v[162:163], v[20:21], s[20:21], v[172:173]
	;; [unrolled: 1-line block ×4, first 2 shown]
	v_add_f64_e32 v[44:45], v[80:81], v[76:77]
	v_fma_f64 v[164:165], v[78:79], s[12:13], v[18:19]
	v_fma_f64 v[166:167], v[66:67], s[2:3], v[58:59]
	v_add_f64_e64 v[58:59], v[116:117], -v[146:147]
	v_add_f64_e32 v[116:117], v[6:7], v[14:15]
	v_fma_f64 v[168:169], v[72:73], s[14:15], v[82:83]
	v_add_f64_e32 v[172:173], v[2:3], v[10:11]
	v_fma_f64 v[20:21], v[20:21], s[2:3], v[60:61]
	v_add_f64_e64 v[54:55], v[76:77], -v[80:81]
	v_fma_f64 v[146:147], v[72:73], s[14:15], v[74:75]
	v_mul_u32_u24_e32 v76, 10, v185
	v_fma_f64 v[170:171], v[30:31], s[14:15], v[88:89]
	v_fma_f64 v[174:175], v[86:87], s[16:17], v[94:95]
	;; [unrolled: 1-line block ×5, first 2 shown]
	v_add_f64_e32 v[50:51], v[102:103], v[96:97]
	v_add_f64_e32 v[0:1], v[16:17], v[122:123]
	;; [unrolled: 1-line block ×5, first 2 shown]
	v_add_f64_e64 v[10:11], v[122:123], -v[16:17]
	v_add_f64_e64 v[12:13], v[104:105], -v[110:111]
	v_add_f64_e64 v[14:15], v[138:139], -v[130:131]
	v_add_f64_e64 v[16:17], v[134:135], -v[92:93]
	v_add_f64_e32 v[52:53], v[114:115], v[106:107]
	v_add_f64_e32 v[8:9], v[136:137], v[98:99]
	;; [unrolled: 1-line block ×4, first 2 shown]
	v_add_f64_e64 v[87:88], v[90:91], -v[154:155]
	v_add_f64_e64 v[89:90], v[124:125], -v[160:161]
	v_lshl_add_u32 v125, v76, 3, 0
	v_add_f64_e64 v[18:19], v[136:137], -v[98:99]
	ds_store_b128 v125, v[32:35]
	ds_store_b128 v125, v[26:29] offset:16
	ds_store_b128 v125, v[22:25] offset:32
	;; [unrolled: 1-line block ×4, first 2 shown]
	v_and_b32_e32 v40, 0xffff, v203
	v_add_f64_e64 v[60:61], v[102:103], -v[96:97]
	v_add_f64_e64 v[62:63], v[114:115], -v[106:107]
	v_add_f64_e32 v[64:65], v[142:143], v[100:101]
	v_add_f64_e32 v[66:67], v[178:179], v[132:133]
	;; [unrolled: 1-line block ×5, first 2 shown]
	v_add_f64_e64 v[95:96], v[100:101], -v[142:143]
	v_add_f64_e64 v[101:102], v[112:113], -v[164:165]
	;; [unrolled: 1-line block ×3, first 2 shown]
	v_add_f64_e32 v[105:106], v[172:173], v[116:117]
	v_add_f64_e32 v[113:114], v[168:169], v[20:21]
	v_add_f64_e64 v[115:116], v[116:117], -v[172:173]
	v_add_f64_e32 v[77:78], v[144:145], v[140:141]
	v_add_f64_e32 v[81:82], v[120:121], v[162:163]
	v_add_f64_e64 v[91:92], v[120:121], -v[162:163]
	v_add_f64_e32 v[107:108], v[146:147], v[174:175]
	v_add_f64_e64 v[117:118], v[146:147], -v[174:175]
	v_add_f64_e64 v[119:120], v[170:171], -v[126:127]
	;; [unrolled: 1-line block ×3, first 2 shown]
	v_add_f64_e32 v[93:94], v[180:181], v[166:167]
	v_add_f64_e32 v[109:110], v[170:171], v[126:127]
	;; [unrolled: 1-line block ×3, first 2 shown]
	v_add_f64_e64 v[121:122], v[30:31], -v[128:129]
	v_add_f64_e64 v[123:124], v[168:169], -v[20:21]
	;; [unrolled: 1-line block ×5, first 2 shown]
	v_mul_u32_u24_e32 v40, 0xcccd, v40
	v_and_b32_e32 v41, 0xffff, v202
	v_mul_i32_i24_e32 v30, 10, v203
	v_mul_i32_i24_e32 v20, 10, v202
	v_mad_i32_i24 v211, 0xffffffb8, v185, v125
	v_lshrrev_b32_e32 v220, 19, v40
	v_mul_u32_u24_e32 v40, 0xcccd, v41
	v_lshl_add_u32 v215, v30, 3, 0
	v_lshl_add_u32 v216, v20, 3, 0
	ds_store_b128 v215, v[0:3]
	ds_store_b128 v215, v[4:7] offset:16
	ds_store_b128 v215, v[8:11] offset:32
	;; [unrolled: 1-line block ×4, first 2 shown]
	ds_store_b128 v216, v[68:71]
	ds_store_b128 v216, v[72:75] offset:16
	ds_store_b128 v216, v[81:84] offset:32
	;; [unrolled: 1-line block ×4, first 2 shown]
	v_lshrrev_b32_e32 v221, 19, v40
	v_mul_lo_u16 v41, v220, 10
	v_add_nc_u32_e32 v73, 0x2c00, v211
	v_add_nc_u32_e32 v72, 0x4400, v211
	;; [unrolled: 1-line block ×3, first 2 shown]
	v_mul_lo_u16 v40, v221, 10
	v_sub_nc_u16 v41, v203, v41
	v_add_nc_u32_e32 v76, 0x3400, v211
	v_add_nc_u32_e32 v74, 0x5000, v211
	v_mad_i32_i24 v219, 0xffffffb8, v202, v216
	v_sub_nc_u16 v40, v202, v40
	v_and_b32_e32 v223, 0xffff, v41
	v_add_nc_u32_e32 v235, 0x2400, v211
	v_add_nc_u32_e32 v236, 0x3c00, v211
	;; [unrolled: 1-line block ×3, first 2 shown]
	v_and_b32_e32 v222, 0xffff, v40
	v_lshlrev_b32_e32 v40, 6, v223
	v_add_nc_u32_e32 v238, 0x6000, v211
	v_mad_i32_i24 v218, 0xffffffb8, v203, v215
	v_add_nc_u32_e32 v237, 0x6800, v211
	v_add_nc_u32_e32 v234, 0x5800, v211
	v_lshl_add_u32 v214, v205, 3, 0
	v_lshlrev_b32_e32 v41, 6, v222
	v_lshl_add_u32 v217, v206, 3, 0
	v_lshl_add_u32 v213, v204, 3, 0
	;; [unrolled: 1-line block ×3, first 2 shown]
	global_wb scope:SCOPE_SE
	s_wait_dscnt 0x0
	s_barrier_signal -1
	s_barrier_wait -1
	global_inv scope:SCOPE_SE
	ds_load_b64 v[152:153], v211
	ds_load_2addr_b64 v[4:7], v73 offset0:77 offset1:212
	ds_load_2addr_b64 v[8:11], v72 offset0:119 offset1:254
	;; [unrolled: 1-line block ×11, first 2 shown]
	ds_load_b64 v[150:151], v214
	ds_load_b64 v[158:159], v219
	;; [unrolled: 1-line block ×6, first 2 shown]
	ds_load_b64 v[162:163], v211 offset:31320
	global_wb scope:SCOPE_SE
	s_wait_dscnt 0x0
	s_barrier_signal -1
	s_barrier_wait -1
	global_inv scope:SCOPE_SE
	ds_store_b128 v125, v[44:47]
	ds_store_b128 v125, v[48:51] offset:16
	ds_store_b128 v125, v[52:55] offset:32
	ds_store_b128 v125, v[56:59] offset:48
	ds_store_b128 v125, v[60:63] offset:64
	ds_store_b128 v215, v[64:67]
	ds_store_b128 v215, v[77:80] offset:16
	ds_store_b128 v215, v[93:96] offset:32
	ds_store_b128 v215, v[97:100] offset:48
	ds_store_b128 v215, v[101:104] offset:64
	;; [unrolled: 5-line block ×3, first 2 shown]
	global_wb scope:SCOPE_SE
	s_wait_dscnt 0x0
	s_barrier_signal -1
	s_barrier_wait -1
	global_inv scope:SCOPE_SE
	s_clause 0x4
	global_load_b128 v[239:242], v40, s[4:5]
	global_load_b128 v[243:246], v41, s[4:5]
	global_load_b128 v[80:83], v40, s[4:5] offset:16
	global_load_b128 v[92:95], v41, s[4:5] offset:16
	;; [unrolled: 1-line block ×3, first 2 shown]
	v_and_b32_e32 v224, 0xff, v185
	global_load_b128 v[96:99], v41, s[4:5] offset:32
	v_and_b32_e32 v43, 0xffff, v204
	v_and_b32_e32 v44, 0xffff, v205
	v_mul_lo_u16 v42, 0xcd, v224
	s_delay_alu instid0(VALU_DEP_3) | instskip(NEXT) | instid1(VALU_DEP_2)
	v_mul_u32_u24_e32 v43, 0xcccd, v43
	v_lshrrev_b16 v225, 11, v42
	s_delay_alu instid0(VALU_DEP_2) | instskip(NEXT) | instid1(VALU_DEP_2)
	v_lshrrev_b32_e32 v228, 19, v43
	v_mul_lo_u16 v42, v225, 10
	s_delay_alu instid0(VALU_DEP_1) | instskip(NEXT) | instid1(VALU_DEP_1)
	v_sub_nc_u16 v42, v185, v42
	v_and_b32_e32 v226, 0xff, v42
	s_delay_alu instid0(VALU_DEP_1)
	v_lshlrev_b32_e32 v42, 6, v226
	s_clause 0x3
	global_load_b128 v[100:103], v42, s[4:5]
	global_load_b128 v[104:107], v42, s[4:5] offset:16
	global_load_b128 v[132:135], v42, s[4:5] offset:32
	;; [unrolled: 1-line block ×3, first 2 shown]
	v_mul_u32_u24_e32 v42, 0xcccd, v44
	s_clause 0x1
	global_load_b128 v[136:139], v40, s[4:5] offset:48
	global_load_b128 v[124:127], v41, s[4:5] offset:48
	v_lshrrev_b32_e32 v227, 19, v42
	v_mul_lo_u16 v42, v228, 10
	s_delay_alu instid0(VALU_DEP_2) | instskip(NEXT) | instid1(VALU_DEP_2)
	v_mul_lo_u16 v43, v227, 10
	v_sub_nc_u16 v42, v204, v42
	s_delay_alu instid0(VALU_DEP_2) | instskip(NEXT) | instid1(VALU_DEP_2)
	v_sub_nc_u16 v40, v205, v43
	v_and_b32_e32 v231, 0xffff, v42
	v_and_b32_e32 v42, 0xffff, v206
	s_delay_alu instid0(VALU_DEP_3) | instskip(NEXT) | instid1(VALU_DEP_3)
	v_and_b32_e32 v229, 0xffff, v40
	v_lshlrev_b32_e32 v40, 6, v231
	s_delay_alu instid0(VALU_DEP_3) | instskip(NEXT) | instid1(VALU_DEP_3)
	v_mul_u32_u24_e32 v42, 0xcccd, v42
	v_lshlrev_b32_e32 v41, 6, v229
	s_clause 0x1
	global_load_b128 v[120:123], v40, s[4:5]
	global_load_b128 v[112:115], v40, s[4:5] offset:16
	v_lshrrev_b32_e32 v230, 19, v42
	s_clause 0x4
	global_load_b128 v[84:87], v40, s[4:5] offset:32
	global_load_b128 v[116:119], v41, s[4:5]
	global_load_b128 v[108:111], v41, s[4:5] offset:16
	global_load_b128 v[52:55], v41, s[4:5] offset:32
	;; [unrolled: 1-line block ×3, first 2 shown]
	v_mul_lo_u16 v42, v230, 10
	s_delay_alu instid0(VALU_DEP_1) | instskip(NEXT) | instid1(VALU_DEP_1)
	v_sub_nc_u16 v42, v206, v42
	v_and_b32_e32 v232, 0xffff, v42
	s_delay_alu instid0(VALU_DEP_1)
	v_lshlrev_b32_e32 v64, 6, v232
	s_clause 0x4
	global_load_b128 v[48:51], v41, s[4:5] offset:48
	global_load_b128 v[40:43], v64, s[4:5]
	global_load_b128 v[56:59], v64, s[4:5] offset:16
	global_load_b128 v[60:63], v64, s[4:5] offset:32
	;; [unrolled: 1-line block ×3, first 2 shown]
	ds_load_2addr_b64 v[247:250], v75 offset0:49 offset1:184
	ds_load_2addr_b64 v[140:143], v76 offset0:91 offset1:226
	;; [unrolled: 1-line block ×3, first 2 shown]
	ds_load_b64 v[180:181], v212
	ds_load_2addr_b64 v[76:79], v73 offset0:77 offset1:212
	ds_load_2addr_b64 v[72:75], v72 offset0:119 offset1:254
	s_wait_loadcnt_dscnt 0x1705
	v_mul_f64_e32 v[166:167], v[247:248], v[241:242]
	v_mul_f64_e32 v[241:242], v[68:69], v[241:242]
	s_wait_loadcnt 0x16
	v_mul_f64_e32 v[251:252], v[249:250], v[245:246]
	v_mul_f64_e32 v[245:246], v[70:71], v[245:246]
	s_wait_loadcnt_dscnt 0x1504
	v_mul_f64_e32 v[176:177], v[140:141], v[82:83]
	v_mul_f64_e32 v[178:179], v[36:37], v[82:83]
	s_wait_loadcnt 0x14
	v_mul_f64_e32 v[174:175], v[142:143], v[94:95]
	v_mul_f64_e32 v[172:173], v[38:39], v[94:95]
	s_wait_loadcnt_dscnt 0x1303
	v_mul_f64_e32 v[168:169], v[144:145], v[90:91]
	v_mul_f64_e32 v[170:171], v[32:33], v[90:91]
	s_wait_loadcnt 0x12
	v_mul_f64_e32 v[253:254], v[146:147], v[98:99]
	v_fma_f64 v[166:167], v[68:69], v[239:240], v[166:167]
	v_fma_f64 v[94:95], v[247:248], v[239:240], -v[241:242]
	v_fma_f64 v[90:91], v[70:71], v[243:244], v[251:252]
	ds_load_2addr_b64 v[68:71], v238 offset0:33 offset1:168
	v_mul_f64_e32 v[238:239], v[34:35], v[98:99]
	v_fma_f64 v[82:83], v[249:250], v[243:244], -v[245:246]
	s_wait_loadcnt_dscnt 0x1103
	v_mul_f64_e32 v[242:243], v[180:181], v[102:103]
	v_mul_f64_e32 v[102:103], v[164:165], v[102:103]
	v_fma_f64 v[244:245], v[36:37], v[80:81], v[176:177]
	v_fma_f64 v[246:247], v[140:141], v[80:81], -v[178:179]
	s_wait_loadcnt_dscnt 0x1002
	v_mul_f64_e32 v[80:81], v[78:79], v[106:107]
	v_fma_f64 v[38:39], v[38:39], v[92:93], v[174:175]
	v_mul_f64_e32 v[106:107], v[6:7], v[106:107]
	s_wait_loadcnt_dscnt 0xf01
	v_mul_f64_e32 v[174:175], v[74:75], v[134:135]
	v_fma_f64 v[36:37], v[142:143], v[92:93], -v[172:173]
	v_mul_f64_e32 v[134:135], v[10:11], v[134:135]
	ds_load_b64 v[98:99], v213
	ds_load_b64 v[240:241], v211 offset:31320
	ds_load_2addr_b64 v[176:179], v237 offset0:47 offset1:182
	v_fma_f64 v[92:93], v[32:33], v[88:89], v[168:169]
	v_fma_f64 v[88:89], v[144:145], v[88:89], -v[170:171]
	ds_load_2addr_b64 v[140:143], v235 offset0:63 offset1:198
	v_fma_f64 v[34:35], v[34:35], v[96:97], v[253:254]
	s_wait_loadcnt_dscnt 0xe04
	v_mul_f64_e32 v[172:173], v[70:71], v[130:131]
	v_mul_f64_e32 v[130:131], v[2:3], v[130:131]
	s_wait_loadcnt_dscnt 0xd01
	v_mul_f64_e32 v[168:169], v[176:177], v[138:139]
	v_mul_f64_e32 v[138:139], v[28:29], v[138:139]
	s_wait_loadcnt 0xc
	v_mul_f64_e32 v[170:171], v[178:179], v[126:127]
	v_fma_f64 v[32:33], v[146:147], v[96:97], -v[238:239]
	ds_load_2addr_b64 v[144:147], v236 offset0:105 offset1:240
	v_mul_f64_e32 v[96:97], v[30:31], v[126:127]
	s_wait_loadcnt_dscnt 0xb01
	v_mul_f64_e32 v[126:127], v[140:141], v[122:123]
	v_mul_f64_e32 v[122:123], v[24:25], v[122:123]
	v_fma_f64 v[164:165], v[164:165], v[100:101], v[242:243]
	v_fma_f64 v[180:181], v[180:181], v[100:101], -v[102:103]
	ds_load_2addr_b64 v[100:103], v234 offset0:19 offset1:154
	s_wait_loadcnt 0x8
	v_mul_f64_e32 v[234:235], v[142:143], v[118:119]
	v_mul_f64_e32 v[118:119], v[26:27], v[118:119]
	v_fma_f64 v[236:237], v[6:7], v[104:105], v[80:81]
	v_fma_f64 v[238:239], v[78:79], v[104:105], -v[106:107]
	v_fma_f64 v[174:175], v[10:11], v[132:133], v[174:175]
	v_fma_f64 v[132:133], v[74:75], v[132:133], -v[134:135]
	ds_load_2addr_b64 v[104:107], v233 offset0:61 offset1:196
	v_fma_f64 v[78:79], v[2:3], v[128:129], v[172:173]
	v_fma_f64 v[70:71], v[70:71], v[128:129], -v[130:131]
	s_wait_dscnt 0x2
	v_mul_f64_e32 v[134:135], v[144:145], v[114:115]
	v_mul_f64_e32 v[114:115], v[20:21], v[114:115]
	s_wait_loadcnt 0x7
	v_mul_f64_e32 v[128:129], v[146:147], v[110:111]
	v_mul_f64_e32 v[110:111], v[22:23], v[110:111]
	s_wait_dscnt 0x1
	v_mul_f64_e32 v[130:131], v[100:101], v[86:87]
	v_mul_f64_e32 v[86:87], v[16:17], v[86:87]
	v_fma_f64 v[74:75], v[28:29], v[136:137], v[168:169]
	v_fma_f64 v[80:81], v[176:177], v[136:137], -v[138:139]
	s_wait_loadcnt 0x6
	v_mul_f64_e32 v[136:137], v[102:103], v[54:55]
	v_mul_f64_e32 v[54:55], v[18:19], v[54:55]
	s_wait_loadcnt_dscnt 0x500
	v_mul_f64_e32 v[138:139], v[104:105], v[46:47]
	v_mul_f64_e32 v[46:47], v[12:13], v[46:47]
	v_fma_f64 v[28:29], v[30:31], v[124:125], v[170:171]
	v_fma_f64 v[2:3], v[178:179], v[124:125], -v[96:97]
	s_wait_loadcnt 0x4
	v_mul_f64_e32 v[96:97], v[106:107], v[50:51]
	v_mul_f64_e32 v[50:51], v[14:15], v[50:51]
	s_wait_loadcnt 0x3
	v_mul_f64_e32 v[124:125], v[76:77], v[42:43]
	v_fma_f64 v[30:31], v[24:25], v[120:121], v[126:127]
	v_fma_f64 v[24:25], v[140:141], v[120:121], -v[122:123]
	v_mul_f64_e32 v[120:121], v[4:5], v[42:43]
	s_wait_loadcnt 0x2
	v_mul_f64_e32 v[122:123], v[72:73], v[58:59]
	v_fma_f64 v[10:11], v[26:27], v[116:117], v[234:235]
	v_fma_f64 v[6:7], v[142:143], v[116:117], -v[118:119]
	v_add_f64_e32 v[116:117], v[236:237], v[174:175]
	v_mul_f64_e32 v[58:59], v[8:9], v[58:59]
	v_add_f64_e32 v[142:143], v[238:239], v[132:133]
	s_wait_loadcnt 0x1
	v_mul_f64_e32 v[140:141], v[68:69], v[62:63]
	v_mul_f64_e32 v[62:63], v[0:1], v[62:63]
	ds_load_b64 v[126:127], v211
	v_add_f64_e64 v[178:179], v[94:95], -v[246:247]
	v_add_f64_e32 v[118:119], v[164:165], v[78:79]
	v_fma_f64 v[42:43], v[20:21], v[112:113], v[134:135]
	v_fma_f64 v[26:27], v[144:145], v[112:113], -v[114:115]
	v_add_f64_e32 v[112:113], v[180:181], v[70:71]
	v_fma_f64 v[22:23], v[22:23], v[108:109], v[128:129]
	s_wait_loadcnt 0x0
	v_mul_f64_e32 v[114:115], v[240:241], v[66:67]
	v_add_f64_e32 v[128:129], v[244:245], v[92:93]
	v_fma_f64 v[20:21], v[146:147], v[108:109], -v[110:111]
	ds_load_b64 v[108:109], v219
	ds_load_b64 v[110:111], v214
	;; [unrolled: 1-line block ×3, first 2 shown]
	v_mul_f64_e32 v[66:67], v[162:163], v[66:67]
	v_fma_f64 v[16:17], v[16:17], v[84:85], v[130:131]
	v_fma_f64 v[84:85], v[100:101], v[84:85], -v[86:87]
	ds_load_b64 v[86:87], v217
	v_add_f64_e32 v[100:101], v[166:167], v[74:75]
	v_fma_f64 v[18:19], v[18:19], v[52:53], v[136:137]
	v_fma_f64 v[52:53], v[102:103], v[52:53], -v[54:55]
	v_fma_f64 v[12:13], v[12:13], v[44:45], v[138:139]
	v_fma_f64 v[44:45], v[104:105], v[44:45], -v[46:47]
	v_add_f64_e32 v[46:47], v[246:247], v[88:89]
	v_add_f64_e32 v[54:55], v[38:39], v[34:35]
	v_fma_f64 v[14:15], v[14:15], v[48:49], v[96:97]
	v_fma_f64 v[48:49], v[106:107], v[48:49], -v[50:51]
	v_add_f64_e32 v[50:51], v[94:95], v[80:81]
	v_fma_f64 v[4:5], v[4:5], v[40:41], v[124:125]
	v_add_f64_e32 v[102:103], v[160:161], v[166:167]
	v_fma_f64 v[40:41], v[76:77], v[40:41], -v[120:121]
	v_fma_f64 v[8:9], v[8:9], v[56:57], v[122:123]
	v_add_f64_e32 v[76:77], v[152:153], v[164:165]
	s_wait_dscnt 0x1
	v_add_f64_e32 v[104:105], v[134:135], v[94:95]
	v_add_f64_e64 v[106:107], v[180:181], -v[70:71]
	v_fma_f64 v[116:117], v[116:117], -0.5, v[152:153]
	v_add_f64_e64 v[120:121], v[238:239], -v[132:133]
	v_add_f64_e64 v[122:123], v[164:165], -v[78:79]
	v_fma_f64 v[124:125], v[142:143], -0.5, v[126:127]
	v_fma_f64 v[56:57], v[72:73], v[56:57], -v[58:59]
	v_add_f64_e64 v[58:59], v[236:237], -v[174:175]
	v_fma_f64 v[118:119], v[118:119], -0.5, v[152:153]
	v_add_f64_e32 v[96:97], v[126:127], v[180:181]
	v_fma_f64 v[0:1], v[0:1], v[60:61], v[140:141]
	v_fma_f64 v[60:61], v[68:69], v[60:61], -v[62:63]
	v_fma_f64 v[72:73], v[112:113], -0.5, v[126:127]
	v_add_f64_e64 v[112:113], v[94:95], -v[80:81]
	v_fma_f64 v[62:63], v[162:163], v[64:65], v[114:115]
	v_fma_f64 v[114:115], v[128:129], -0.5, v[160:161]
	v_add_f64_e64 v[68:69], v[78:79], -v[174:175]
	v_add_f64_e64 v[126:127], v[236:237], -v[164:165]
	;; [unrolled: 1-line block ×3, first 2 shown]
	v_fma_f64 v[64:65], v[240:241], v[64:65], -v[66:67]
	v_add_f64_e64 v[66:67], v[164:165], -v[236:237]
	v_add_f64_e64 v[136:137], v[246:247], -v[88:89]
	;; [unrolled: 1-line block ×3, first 2 shown]
	v_fma_f64 v[100:101], v[100:101], -0.5, v[160:161]
	v_add_f64_e64 v[152:153], v[244:245], -v[92:93]
	v_add_f64_e64 v[140:141], v[238:239], -v[180:181]
	;; [unrolled: 1-line block ×4, first 2 shown]
	v_fma_f64 v[46:47], v[46:47], -0.5, v[134:135]
	v_fma_f64 v[54:55], v[54:55], -0.5, v[158:159]
	v_add_f64_e64 v[162:163], v[244:245], -v[166:167]
	v_add_f64_e64 v[130:131], v[180:181], -v[238:239]
	v_fma_f64 v[50:51], v[50:51], -0.5, v[134:135]
	v_add_f64_e64 v[134:135], v[82:83], -v[2:3]
	v_add_f64_e32 v[102:103], v[102:103], v[244:245]
	v_add_f64_e64 v[138:139], v[70:71], -v[132:133]
	v_add_f64_e64 v[160:161], v[74:75], -v[92:93]
	v_add_f64_e32 v[76:77], v[76:77], v[236:237]
	v_add_f64_e32 v[104:105], v[104:105], v[246:247]
	;; [unrolled: 1-line block ×3, first 2 shown]
	v_fma_f64 v[166:167], v[106:107], s[6:7], v[116:117]
	v_fma_f64 v[116:117], v[106:107], s[12:13], v[116:117]
	v_add_f64_e32 v[243:244], v[158:159], v[90:91]
	v_fma_f64 v[170:171], v[122:123], s[12:13], v[124:125]
	v_fma_f64 v[124:125], v[122:123], s[6:7], v[124:125]
	v_add_f64_e64 v[164:165], v[92:93], -v[74:75]
	v_fma_f64 v[168:169], v[120:121], s[12:13], v[118:119]
	v_fma_f64 v[118:119], v[120:121], s[6:7], v[118:119]
	v_add_f64_e32 v[96:97], v[96:97], v[238:239]
	v_add_f64_e64 v[94:95], v[246:247], -v[94:95]
	v_fma_f64 v[176:177], v[58:59], s[6:7], v[72:73]
	v_fma_f64 v[72:73], v[58:59], s[12:13], v[72:73]
	v_add_f64_e64 v[180:181], v[80:81], -v[88:89]
	v_fma_f64 v[239:240], v[112:113], s[6:7], v[114:115]
	v_fma_f64 v[114:115], v[112:113], s[12:13], v[114:115]
	v_add_f64_e64 v[233:234], v[88:89], -v[80:81]
	v_add_f64_e64 v[235:236], v[90:91], -v[38:39]
	;; [unrolled: 1-line block ×4, first 2 shown]
	v_add_f64_e32 v[66:67], v[66:67], v[68:69]
	v_add_f64_e32 v[126:127], v[126:127], v[128:129]
	v_fma_f64 v[247:248], v[136:137], s[12:13], v[100:101]
	v_fma_f64 v[100:101], v[136:137], s[6:7], v[100:101]
	v_add_f64_e32 v[245:246], v[36:37], v[32:33]
	v_add_f64_e32 v[249:250], v[82:83], v[2:3]
	;; [unrolled: 1-line block ×3, first 2 shown]
	v_fma_f64 v[68:69], v[144:145], s[12:13], v[46:47]
	v_fma_f64 v[46:47], v[144:145], s[6:7], v[46:47]
	v_add_f64_e32 v[187:188], v[30:31], v[12:13]
	global_wb scope:SCOPE_SE
	s_wait_dscnt 0x0
	v_fma_f64 v[128:129], v[152:153], s[6:7], v[50:51]
	v_fma_f64 v[50:51], v[152:153], s[12:13], v[50:51]
	;; [unrolled: 1-line block ×4, first 2 shown]
	v_add_f64_e32 v[92:93], v[102:103], v[92:93]
	v_add_f64_e32 v[76:77], v[76:77], v[174:175]
	;; [unrolled: 1-line block ×4, first 2 shown]
	v_fma_f64 v[102:103], v[120:121], s[0:1], v[166:167]
	v_fma_f64 v[104:105], v[120:121], s[2:3], v[116:117]
	v_add_f64_e32 v[120:121], v[140:141], v[142:143]
	v_add_f64_e32 v[140:141], v[26:27], v[84:85]
	;; [unrolled: 1-line block ×4, first 2 shown]
	v_fma_f64 v[116:117], v[106:107], s[0:1], v[168:169]
	v_fma_f64 v[106:107], v[106:107], s[2:3], v[118:119]
	;; [unrolled: 1-line block ×6, first 2 shown]
	v_add_f64_e32 v[96:97], v[96:97], v[132:133]
	v_fma_f64 v[132:133], v[172:173], -0.5, v[158:159]
	v_fma_f64 v[158:159], v[136:137], s[0:1], v[239:240]
	v_fma_f64 v[114:115], v[136:137], s[2:3], v[114:115]
	v_add_f64_e32 v[138:139], v[108:109], v[82:83]
	v_add_f64_e32 v[160:161], v[162:163], v[164:165]
	;; [unrolled: 1-line block ×4, first 2 shown]
	v_add_f64_e64 v[122:123], v[90:91], -v[28:29]
	v_fma_f64 v[164:165], v[112:113], s[0:1], v[247:248]
	v_fma_f64 v[100:101], v[112:113], s[2:3], v[100:101]
	v_add_f64_e32 v[112:113], v[235:236], v[237:238]
	v_add_f64_e64 v[142:143], v[38:39], -v[34:35]
	v_add_f64_e64 v[136:137], v[24:25], -v[44:45]
	v_fma_f64 v[68:69], v[152:153], s[2:3], v[68:69]
	v_fma_f64 v[46:47], v[152:153], s[0:1], v[46:47]
	v_fma_f64 v[152:153], v[245:246], -0.5, v[108:109]
	v_fma_f64 v[108:109], v[249:250], -0.5, v[108:109]
	v_fma_f64 v[128:129], v[144:145], s[2:3], v[128:129]
	v_fma_f64 v[50:51], v[144:145], s[0:1], v[50:51]
	;; [unrolled: 1-line block ×3, first 2 shown]
	v_fma_f64 v[168:169], v[251:252], -0.5, v[156:157]
	v_fma_f64 v[54:55], v[241:242], s[2:3], v[54:55]
	v_add_f64_e32 v[76:77], v[76:77], v[78:79]
	v_add_f64_e32 v[74:75], v[92:93], v[74:75]
	;; [unrolled: 1-line block ×3, first 2 shown]
	v_fma_f64 v[80:81], v[66:67], s[14:15], v[102:103]
	v_add_f64_e32 v[102:103], v[24:25], v[44:45]
	v_fma_f64 v[66:67], v[66:67], s[14:15], v[104:105]
	v_add_f64_e64 v[38:39], v[38:39], -v[90:91]
	v_add_f64_e64 v[90:91], v[34:35], -v[28:29]
	v_add_f64_e32 v[34:35], v[166:167], v[34:35]
	v_fma_f64 v[88:89], v[126:127], s[14:15], v[116:117]
	v_fma_f64 v[92:93], v[126:127], s[14:15], v[106:107]
	v_fma_f64 v[116:117], v[187:188], -0.5, v[156:157]
	v_fma_f64 v[104:105], v[130:131], s[14:15], v[58:59]
	v_fma_f64 v[106:107], v[120:121], s[14:15], v[124:125]
	;; [unrolled: 1-line block ×3, first 2 shown]
	v_add_f64_e32 v[120:121], v[156:157], v[30:31]
	v_add_f64_e32 v[70:71], v[96:97], v[70:71]
	v_fma_f64 v[96:97], v[130:131], s[14:15], v[118:119]
	v_add_f64_e64 v[118:119], v[26:27], -v[84:85]
	v_fma_f64 v[124:125], v[146:147], s[14:15], v[158:159]
	v_fma_f64 v[114:115], v[146:147], s[14:15], v[114:115]
	v_fma_f64 v[126:127], v[140:141], -0.5, v[98:99]
	v_add_f64_e64 v[130:131], v[30:31], -v[12:13]
	v_add_f64_e32 v[146:147], v[22:23], v[18:19]
	v_fma_f64 v[58:59], v[241:242], s[12:13], v[132:133]
	v_fma_f64 v[132:133], v[241:242], s[6:7], v[132:133]
	v_add_f64_e32 v[156:157], v[10:11], v[14:15]
	v_fma_f64 v[140:141], v[160:161], s[14:15], v[164:165]
	v_fma_f64 v[100:101], v[160:161], s[14:15], v[100:101]
	;; [unrolled: 1-line block ×4, first 2 shown]
	v_add_f64_e32 v[46:47], v[138:139], v[36:37]
	v_add_f64_e64 v[138:139], v[82:83], -v[36:37]
	v_fma_f64 v[128:129], v[94:95], s[14:15], v[128:129]
	v_fma_f64 v[94:95], v[94:95], s[14:15], v[50:51]
	;; [unrolled: 1-line block ×3, first 2 shown]
	v_add_f64_e64 v[144:145], v[2:3], -v[32:33]
	v_fma_f64 v[54:55], v[112:113], s[14:15], v[54:55]
	v_fma_f64 v[112:113], v[122:123], s[12:13], v[152:153]
	;; [unrolled: 1-line block ×3, first 2 shown]
	v_add_f64_e64 v[36:37], v[36:37], -v[82:83]
	v_fma_f64 v[82:83], v[142:143], s[6:7], v[108:109]
	v_add_f64_e64 v[160:161], v[32:33], -v[2:3]
	v_fma_f64 v[108:109], v[142:143], s[12:13], v[108:109]
	v_add_f64_e32 v[162:163], v[98:99], v[24:25]
	v_add_f64_e64 v[164:165], v[30:31], -v[42:43]
	v_add_f64_e64 v[166:167], v[42:43], -v[16:17]
	v_fma_f64 v[98:99], v[102:103], -0.5, v[98:99]
	v_add_f64_e64 v[102:103], v[12:13], -v[16:17]
	v_fma_f64 v[170:171], v[136:137], s[6:7], v[168:169]
	v_add_f64_e32 v[172:173], v[20:21], v[52:53]
	v_add_f64_e64 v[30:31], v[42:43], -v[30:31]
	v_add_f64_e32 v[176:177], v[6:7], v[48:49]
	v_add_f64_e32 v[42:43], v[120:121], v[42:43]
	;; [unrolled: 1-line block ×4, first 2 shown]
	v_fma_f64 v[168:169], v[136:137], s[12:13], v[168:169]
	v_fma_f64 v[178:179], v[118:119], s[12:13], v[116:117]
	;; [unrolled: 1-line block ×3, first 2 shown]
	v_add_f64_e64 v[174:175], v[16:17], -v[12:13]
	v_fma_f64 v[233:234], v[130:131], s[12:13], v[126:127]
	v_fma_f64 v[126:127], v[130:131], s[6:7], v[126:127]
	v_add_f64_e32 v[28:29], v[34:35], v[28:29]
	v_fma_f64 v[34:35], v[146:147], -0.5, v[150:151]
	v_add_f64_e32 v[146:147], v[56:57], v[60:61]
	v_add_f64_e32 v[237:238], v[40:41], v[64:65]
	v_fma_f64 v[58:59], v[134:135], s[0:1], v[58:59]
	v_add_f64_e32 v[38:39], v[38:39], v[90:91]
	v_add_f64_e64 v[90:91], v[24:25], -v[26:27]
	v_add_f64_e64 v[180:181], v[44:45], -v[84:85]
	v_fma_f64 v[132:133], v[134:135], s[2:3], v[132:133]
	v_add_f64_e64 v[134:135], v[6:7], -v[48:49]
	v_add_f64_e32 v[32:33], v[46:47], v[32:33]
	v_fma_f64 v[156:157], v[156:157], -0.5, v[150:151]
	v_add_f64_e32 v[46:47], v[138:139], v[144:145]
	v_add_f64_e32 v[138:139], v[150:151], v[10:11]
	v_add_f64_e64 v[235:236], v[20:21], -v[52:53]
	v_fma_f64 v[112:113], v[142:143], s[2:3], v[112:113]
	v_fma_f64 v[142:143], v[142:143], s[0:1], v[152:153]
	;; [unrolled: 1-line block ×3, first 2 shown]
	v_add_f64_e32 v[36:37], v[36:37], v[160:161]
	v_fma_f64 v[108:109], v[122:123], s[0:1], v[108:109]
	v_add_f64_e32 v[122:123], v[162:163], v[26:27]
	v_add_f64_e64 v[24:25], v[26:27], -v[24:25]
	v_add_f64_e64 v[26:27], v[84:85], -v[44:45]
	v_fma_f64 v[144:145], v[166:167], s[6:7], v[98:99]
	v_fma_f64 v[98:99], v[166:167], s[12:13], v[98:99]
	v_add_f64_e32 v[102:103], v[164:165], v[102:103]
	v_fma_f64 v[150:151], v[172:173], -0.5, v[110:111]
	v_add_f64_e32 v[152:153], v[110:111], v[6:7]
	v_add_f64_e64 v[160:161], v[10:11], -v[14:15]
	v_fma_f64 v[162:163], v[118:119], s[0:1], v[170:171]
	v_fma_f64 v[110:111], v[176:177], -0.5, v[110:111]
	v_add_f64_e64 v[164:165], v[22:23], -v[18:19]
	v_fma_f64 v[120:121], v[120:121], -0.5, v[154:155]
	v_add_f64_e64 v[170:171], v[40:41], -v[64:65]
	v_add_f64_e32 v[16:17], v[42:43], v[16:17]
	v_fma_f64 v[42:43], v[187:188], -0.5, v[154:155]
	v_add_f64_e32 v[154:155], v[154:155], v[4:5]
	v_fma_f64 v[118:119], v[118:119], s[2:3], v[168:169]
	v_fma_f64 v[168:169], v[136:137], s[0:1], v[178:179]
	;; [unrolled: 1-line block ×3, first 2 shown]
	v_add_f64_e64 v[136:137], v[56:57], -v[60:61]
	v_add_f64_e32 v[30:31], v[30:31], v[174:175]
	v_fma_f64 v[172:173], v[166:167], s[2:3], v[233:234]
	v_fma_f64 v[126:127], v[166:167], s[0:1], v[126:127]
	v_add_f64_e32 v[166:167], v[86:87], v[40:41]
	v_fma_f64 v[146:147], v[146:147], -0.5, v[86:87]
	v_add_f64_e64 v[174:175], v[4:5], -v[62:63]
	v_fma_f64 v[86:87], v[237:238], -0.5, v[86:87]
	v_add_f64_e64 v[178:179], v[8:9], -v[0:1]
	v_add_f64_e32 v[90:91], v[90:91], v[180:181]
	v_add_f64_e64 v[176:177], v[10:11], -v[22:23]
	v_add_f64_e64 v[180:181], v[14:15], -v[18:19]
	v_fma_f64 v[187:188], v[134:135], s[6:7], v[34:35]
	v_add_f64_e64 v[10:11], v[22:23], -v[10:11]
	v_add_f64_e32 v[22:23], v[138:139], v[22:23]
	v_fma_f64 v[233:234], v[235:236], s[12:13], v[156:157]
	v_add_f64_e64 v[237:238], v[18:19], -v[14:15]
	v_fma_f64 v[156:157], v[235:236], s[6:7], v[156:157]
	v_fma_f64 v[34:35], v[134:135], s[12:13], v[34:35]
	v_add_f64_e32 v[84:85], v[122:123], v[84:85]
	v_add_f64_e32 v[24:25], v[24:25], v[26:27]
	v_fma_f64 v[26:27], v[130:131], s[2:3], v[144:145]
	v_fma_f64 v[98:99], v[130:131], s[0:1], v[98:99]
	v_add_f64_e64 v[122:123], v[6:7], -v[20:21]
	v_add_f64_e64 v[130:131], v[48:49], -v[52:53]
	v_add_f64_e32 v[138:139], v[152:153], v[20:21]
	v_fma_f64 v[144:145], v[160:161], s[12:13], v[150:151]
	v_fma_f64 v[150:151], v[160:161], s[6:7], v[150:151]
	v_add_f64_e64 v[6:7], v[20:21], -v[6:7]
	v_add_f64_e64 v[20:21], v[52:53], -v[48:49]
	v_fma_f64 v[152:153], v[164:165], s[6:7], v[110:111]
	v_fma_f64 v[110:111], v[164:165], s[12:13], v[110:111]
	v_add_f64_e64 v[239:240], v[4:5], -v[8:9]
	v_add_f64_e64 v[241:242], v[62:63], -v[0:1]
	v_fma_f64 v[243:244], v[170:171], s[6:7], v[120:121]
	v_add_f64_e64 v[4:5], v[8:9], -v[4:5]
	v_add_f64_e32 v[8:9], v[154:155], v[8:9]
	v_add_f64_e64 v[245:246], v[0:1], -v[62:63]
	v_fma_f64 v[247:248], v[136:137], s[12:13], v[42:43]
	v_fma_f64 v[42:43], v[136:137], s[6:7], v[42:43]
	;; [unrolled: 1-line block ×3, first 2 shown]
	v_add_f64_e64 v[154:155], v[40:41], -v[56:57]
	v_add_f64_e64 v[249:250], v[64:65], -v[60:61]
	v_add_f64_e32 v[166:167], v[166:167], v[56:57]
	v_add_f64_e64 v[40:41], v[56:57], -v[40:41]
	v_fma_f64 v[56:57], v[174:175], s[12:13], v[146:147]
	v_add_f64_e64 v[251:252], v[60:61], -v[64:65]
	v_fma_f64 v[253:254], v[178:179], s[6:7], v[86:87]
	v_fma_f64 v[86:87], v[178:179], s[12:13], v[86:87]
	v_fma_f64 v[146:147], v[174:175], s[6:7], v[146:147]
	v_add_f64_e32 v[176:177], v[176:177], v[180:181]
	v_fma_f64 v[180:181], v[235:236], s[0:1], v[187:188]
	v_add_f64_e32 v[18:19], v[22:23], v[18:19]
	v_fma_f64 v[187:188], v[134:135], s[0:1], v[233:234]
	;; [unrolled: 2-line block ×3, first 2 shown]
	v_fma_f64 v[34:35], v[235:236], s[2:3], v[34:35]
	v_fma_f64 v[58:59], v[38:39], s[14:15], v[58:59]
	;; [unrolled: 1-line block ×3, first 2 shown]
	v_add_f64_e32 v[132:133], v[32:33], v[2:3]
	v_add_f64_e32 v[2:3], v[16:17], v[12:13]
	v_fma_f64 v[12:13], v[102:103], s[14:15], v[162:163]
	v_add_f64_e32 v[22:23], v[122:123], v[130:131]
	v_add_f64_e32 v[52:53], v[138:139], v[52:53]
	v_fma_f64 v[122:123], v[164:165], s[2:3], v[144:145]
	v_fma_f64 v[130:131], v[164:165], s[0:1], v[150:151]
	;; [unrolled: 1-line block ×3, first 2 shown]
	v_add_f64_e32 v[6:7], v[6:7], v[20:21]
	v_fma_f64 v[20:21], v[160:161], s[2:3], v[152:153]
	v_fma_f64 v[110:111], v[160:161], s[0:1], v[110:111]
	;; [unrolled: 1-line block ×3, first 2 shown]
	v_add_f64_e32 v[138:139], v[239:240], v[241:242]
	v_fma_f64 v[144:145], v[136:137], s[0:1], v[243:244]
	v_fma_f64 v[30:31], v[30:31], s[14:15], v[116:117]
	v_add_f64_e32 v[0:1], v[8:9], v[0:1]
	v_add_f64_e32 v[4:5], v[4:5], v[245:246]
	v_fma_f64 v[8:9], v[170:171], s[0:1], v[247:248]
	v_fma_f64 v[42:43], v[170:171], s[2:3], v[42:43]
	;; [unrolled: 1-line block ×4, first 2 shown]
	v_add_f64_e32 v[136:137], v[154:155], v[249:250]
	v_add_f64_e32 v[60:61], v[166:167], v[60:61]
	v_fma_f64 v[98:99], v[24:25], s[14:15], v[98:99]
	v_fma_f64 v[56:57], v[178:179], s[2:3], v[56:57]
	v_add_f64_e32 v[40:41], v[40:41], v[251:252]
	v_fma_f64 v[150:151], v[174:175], s[2:3], v[253:254]
	v_fma_f64 v[86:87], v[174:175], s[0:1], v[86:87]
	;; [unrolled: 1-line block ×5, first 2 shown]
	v_add_f64_e32 v[14:15], v[18:19], v[14:15]
	v_fma_f64 v[18:19], v[176:177], s[14:15], v[180:181]
	v_fma_f64 v[26:27], v[10:11], s[14:15], v[187:188]
	;; [unrolled: 1-line block ×8, first 2 shown]
	v_add_f64_e32 v[84:85], v[84:85], v[44:45]
	v_mul_u32_u24_e32 v34, 0x190, v220
	v_lshlrev_b32_e32 v35, 3, v223
	v_fma_f64 v[122:123], v[22:23], s[14:15], v[122:123]
	v_fma_f64 v[126:127], v[22:23], s[14:15], v[130:131]
	v_and_b32_e32 v22, 0xffff, v225
	v_lshlrev_b32_e32 v23, 3, v226
	v_fma_f64 v[130:131], v[6:7], s[14:15], v[20:21]
	v_fma_f64 v[110:111], v[6:7], s[14:15], v[110:111]
	v_add_f64_e32 v[118:119], v[52:53], v[48:49]
	v_mul_u32_u24_e32 v22, 0x190, v22
	v_fma_f64 v[6:7], v[138:139], s[14:15], v[144:145]
	s_barrier_signal -1
	v_add_f64_e32 v[0:1], v[0:1], v[62:63]
	s_barrier_wait -1
	v_fma_f64 v[8:9], v[4:5], s[14:15], v[8:9]
	v_fma_f64 v[4:5], v[4:5], s[14:15], v[42:43]
	;; [unrolled: 1-line block ×3, first 2 shown]
	global_inv scope:SCOPE_SE
	v_add_nc_u32_e32 v175, 0x3000, v211
	v_add_f64_e32 v[60:61], v[60:61], v[64:65]
	v_add_nc_u32_e32 v176, 0x6400, v211
	v_fma_f64 v[62:63], v[136:137], s[14:15], v[56:57]
	v_add_nc_u32_e32 v173, 0x6c00, v211
	v_add_nc_u32_e32 v181, 0x4a00, v211
	v_fma_f64 v[134:135], v[40:41], s[14:15], v[86:87]
	v_add3_u32 v86, 0, v22, v23
	v_mul_u32_u24_e32 v22, 0x190, v221
	v_lshlrev_b32_e32 v23, 3, v222
	v_add3_u32 v87, 0, v34, v35
	ds_store_2addr_b64 v86, v[76:77], v[80:81] offset1:10
	ds_store_2addr_b64 v86, v[88:89], v[92:93] offset0:20 offset1:30
	ds_store_b64 v86, v[66:67] offset:320
	ds_store_2addr_b64 v87, v[74:75], v[124:125] offset1:10
	ds_store_2addr_b64 v87, v[140:141], v[100:101] offset0:20 offset1:30
	ds_store_b64 v87, v[114:115] offset:320
	v_add3_u32 v66, 0, v22, v23
	v_mul_u32_u24_e32 v22, 0x190, v228
	v_lshlrev_b32_e32 v23, 3, v231
	ds_store_2addr_b64 v66, v[28:29], v[50:51] offset1:10
	ds_store_2addr_b64 v66, v[58:59], v[38:39] offset0:20 offset1:30
	v_mul_u32_u24_e32 v28, 0x190, v227
	v_lshlrev_b32_e32 v29, 3, v229
	v_add3_u32 v67, 0, v22, v23
	v_mul_u32_u24_e32 v22, 0x190, v230
	v_lshlrev_b32_e32 v23, 3, v232
	v_add_nc_u32_e32 v220, 0x7400, v211
	v_add3_u32 v74, 0, v28, v29
	v_add_nc_u32_e32 v170, 0x2800, v211
	v_add_nc_u32_e32 v174, 0x5c00, v211
	v_lshrrev_b16 v76, 1, v203
	v_add_nc_u32_e32 v171, 0x5400, v211
	v_add_nc_u32_e32 v177, 0x3800, v211
	v_lshl_add_u32 v178, v208, 3, 0
	v_fma_f64 v[120:121], v[40:41], s[14:15], v[150:151]
	v_add_nc_u32_e32 v172, 0x4000, v211
	v_lshl_add_u32 v179, v209, 3, 0
	v_fma_f64 v[64:65], v[136:137], s[14:15], v[146:147]
	v_add3_u32 v75, 0, v22, v23
	v_lshl_add_u32 v180, v210, 3, 0
	ds_store_b64 v66, v[54:55] offset:320
	ds_store_2addr_b64 v67, v[2:3], v[12:13] offset1:10
	ds_store_2addr_b64 v67, v[32:33], v[30:31] offset0:20 offset1:30
	ds_store_b64 v67, v[16:17] offset:320
	ds_store_2addr_b64 v74, v[14:15], v[18:19] offset1:10
	ds_store_2addr_b64 v74, v[26:27], v[10:11] offset0:20 offset1:30
	;; [unrolled: 3-line block ×3, first 2 shown]
	ds_store_b64 v75, v[20:21] offset:320
	global_wb scope:SCOPE_SE
	s_wait_dscnt 0x0
	s_barrier_signal -1
	s_barrier_wait -1
	global_inv scope:SCOPE_SE
	ds_load_b64 v[58:59], v211
	ds_load_2addr_b64 v[36:39], v170 offset0:70 offset1:205
	ds_load_2addr_b64 v[32:35], v171 offset0:12 offset1:147
	ds_load_b64 v[56:57], v218
	ds_load_b64 v[52:53], v219
	ds_load_2addr_b64 v[28:31], v175 offset0:84 offset1:219
	ds_load_2addr_b64 v[24:27], v174 offset0:26 offset1:161
	;; [unrolled: 1-line block ×4, first 2 shown]
	ds_load_b64 v[48:49], v214
	ds_load_b64 v[54:55], v213
	;; [unrolled: 1-line block ×3, first 2 shown]
	ds_load_2addr_b64 v[8:11], v172 offset0:112 offset1:247
	ds_load_2addr_b64 v[16:19], v173 offset0:54 offset1:189
	;; [unrolled: 1-line block ×4, first 2 shown]
	ds_load_b64 v[50:51], v217
	ds_load_b64 v[44:45], v178
	;; [unrolled: 1-line block ×4, first 2 shown]
	global_wb scope:SCOPE_SE
	s_wait_dscnt 0x0
	s_barrier_signal -1
	s_barrier_wait -1
	global_inv scope:SCOPE_SE
	ds_store_2addr_b64 v86, v[70:71], v[96:97] offset1:10
	ds_store_2addr_b64 v86, v[106:107], v[72:73] offset0:20 offset1:30
	v_mul_lo_u16 v70, v224, 41
	v_and_b32_e32 v71, 0xffff, v76
	ds_store_b64 v86, v[104:105] offset:320
	ds_store_2addr_b64 v87, v[78:79], v[68:69] offset1:10
	ds_store_2addr_b64 v87, v[128:129], v[94:95] offset0:20 offset1:30
	ds_store_b64 v87, v[158:159] offset:320
	ds_store_2addr_b64 v66, v[132:133], v[112:113] offset1:10
	ds_store_2addr_b64 v66, v[82:83], v[108:109] offset0:20 offset1:30
	ds_store_b64 v66, v[142:143] offset:320
	ds_store_2addr_b64 v67, v[84:85], v[102:103] offset1:10
	v_lshrrev_b16 v86, 11, v70
	v_mul_u32_u24_e32 v68, 0x147b, v71
	ds_store_2addr_b64 v67, v[116:117], v[98:99] offset0:20 offset1:30
	ds_store_b64 v67, v[90:91] offset:320
	ds_store_2addr_b64 v74, v[118:119], v[122:123] offset1:10
	ds_store_2addr_b64 v74, v[130:131], v[110:111] offset0:20 offset1:30
	ds_store_b64 v74, v[126:127] offset:320
	v_mul_lo_u16 v66, v86, 50
	v_lshrrev_b32_e32 v82, 17, v68
	ds_store_2addr_b64 v75, v[60:61], v[62:63] offset1:10
	v_lshrrev_b16 v61, 1, v202
	ds_store_2addr_b64 v75, v[120:121], v[134:135] offset0:20 offset1:30
	ds_store_b64 v75, v[64:65] offset:320
	v_sub_nc_u16 v66, v185, v66
	v_mul_lo_u16 v67, v82, 50
	global_wb scope:SCOPE_SE
	s_wait_dscnt 0x0
	v_and_b32_e32 v77, 0xffff, v61
	s_barrier_signal -1
	v_and_b32_e32 v87, 0xff, v66
	v_lshrrev_b16 v66, 1, v204
	v_sub_nc_u16 v67, v203, v67
	v_mul_u32_u24_e32 v70, 0x147b, v77
	s_barrier_wait -1
	v_lshlrev_b32_e32 v60, 5, v87
	v_and_b32_e32 v74, 0xffff, v66
	v_and_b32_e32 v83, 0xffff, v67
	v_lshrrev_b32_e32 v85, 17, v70
	global_inv scope:SCOPE_SE
	global_load_b128 v[62:65], v60, s[4:5] offset:640
	v_mul_u32_u24_e32 v71, 0x147b, v74
	v_lshlrev_b32_e32 v61, 5, v83
	v_lshrrev_b16 v76, 1, v206
	v_lshrrev_b16 v81, 1, v208
	;; [unrolled: 1-line block ×3, first 2 shown]
	v_lshrrev_b32_e32 v84, 17, v71
	s_clause 0x2
	global_load_b128 v[70:73], v60, s[4:5] offset:656
	global_load_b128 v[66:69], v61, s[4:5] offset:640
	;; [unrolled: 1-line block ×3, first 2 shown]
	v_mul_lo_u16 v60, v85, 50
	v_mul_lo_u16 v75, v84, 50
	v_and_b32_e32 v86, 0xffff, v86
	s_mov_b32 s2, 0xe8584caa
	s_mov_b32 s3, 0xbfebb67a
	v_sub_nc_u16 v60, v202, v60
	v_sub_nc_u16 v61, v204, v75
	v_lshrrev_b16 v75, 1, v205
	s_mov_b32 s7, 0x3febb67a
	s_wait_alu 0xfffe
	s_mov_b32 s6, s2
	v_and_b32_e32 v91, 0xffff, v60
	v_and_b32_e32 v89, 0xffff, v61
	;; [unrolled: 1-line block ×4, first 2 shown]
	v_cmp_gt_u32_e64 s0, 15, v185
	v_lshlrev_b32_e32 v60, 5, v91
	v_lshlrev_b32_e32 v61, 5, v89
	s_clause 0x1
	global_load_b128 v[106:109], v60, s[4:5] offset:640
	global_load_b128 v[110:113], v61, s[4:5] offset:640
	v_mul_u32_u24_e32 v76, 0x147b, v78
	v_mul_u32_u24_e32 v79, 0x147b, v75
	s_clause 0x1
	global_load_b128 v[114:117], v60, s[4:5] offset:656
	global_load_b128 v[118:121], v61, s[4:5] offset:656
	v_lshlrev_b32_e32 v91, 3, v91
	v_lshrrev_b32_e32 v90, 17, v76
	v_lshrrev_b32_e32 v88, 17, v79
	v_lshrrev_b16 v79, 1, v207
	v_lshlrev_b32_e32 v89, 3, v89
	s_delay_alu instid0(VALU_DEP_4) | instskip(NEXT) | instid1(VALU_DEP_4)
	v_mul_lo_u16 v60, v90, 50
	v_mul_lo_u16 v76, v88, 50
	s_delay_alu instid0(VALU_DEP_4) | instskip(SKIP_1) | instid1(VALU_DEP_4)
	v_and_b32_e32 v80, 0xffff, v79
	v_lshrrev_b16 v79, 1, v209
	v_sub_nc_u16 v60, v205, v60
	s_delay_alu instid0(VALU_DEP_4) | instskip(SKIP_1) | instid1(VALU_DEP_4)
	v_sub_nc_u16 v61, v206, v76
	v_and_b32_e32 v76, 0xffff, v81
	v_and_b32_e32 v81, 0xffff, v79
	;; [unrolled: 1-line block ×5, first 2 shown]
	v_mul_u32_u24_e32 v60, 0x147b, v80
	v_mul_u32_u24_e32 v61, 0x147b, v76
	;; [unrolled: 1-line block ×3, first 2 shown]
	v_lshlrev_b32_e32 v97, 5, v93
	v_mul_u32_u24_e32 v98, 0x147b, v79
	v_lshrrev_b32_e32 v101, 17, v60
	v_lshlrev_b32_e32 v60, 5, v92
	v_lshrrev_b32_e32 v94, 17, v61
	s_clause 0x1
	global_load_b128 v[122:125], v97, s[4:5] offset:640
	global_load_b128 v[130:133], v97, s[4:5] offset:656
	v_mul_lo_u16 v61, v101, 50
	s_clause 0x1
	global_load_b128 v[126:129], v60, s[4:5] offset:640
	global_load_b128 v[134:137], v60, s[4:5] offset:656
	v_mul_lo_u16 v95, v94, 50
	v_lshrrev_b32_e32 v96, 17, v96
	v_sub_nc_u16 v61, v207, v61
	v_mul_u32_u24_e32 v101, 0x4b0, v101
	s_delay_alu instid0(VALU_DEP_4) | instskip(SKIP_1) | instid1(VALU_DEP_4)
	v_sub_nc_u16 v99, v208, v95
	v_lshrrev_b32_e32 v95, 17, v98
	v_and_b32_e32 v100, 0xffff, v61
	v_mul_lo_u16 v61, v96, 50
	v_mul_u32_u24_e32 v96, 0x4b0, v96
	v_and_b32_e32 v98, 0xffff, v99
	v_mul_lo_u16 v97, v95, 50
	v_lshlrev_b32_e32 v146, 5, v100
	v_sub_nc_u16 v61, v209, v61
	v_lshlrev_b32_e32 v100, 3, v100
	v_lshlrev_b32_e32 v60, 5, v98
	v_sub_nc_u16 v97, v210, v97
	s_clause 0x1
	global_load_b128 v[138:141], v146, s[4:5] offset:640
	global_load_b128 v[142:145], v60, s[4:5] offset:640
	v_and_b32_e32 v99, 0xffff, v61
	v_and_b32_e32 v97, 0xffff, v97
	s_clause 0x1
	global_load_b128 v[150:153], v146, s[4:5] offset:656
	global_load_b128 v[154:157], v60, s[4:5] offset:656
	v_lshlrev_b32_e32 v98, 3, v98
	v_lshlrev_b32_e32 v60, 5, v99
	v_lshlrev_b32_e32 v61, 5, v97
	s_clause 0x3
	global_load_b128 v[158:161], v60, s[4:5] offset:640
	global_load_b128 v[162:165], v61, s[4:5] offset:640
	;; [unrolled: 1-line block ×4, first 2 shown]
	ds_load_2addr_b64 v[225:228], v170 offset0:70 offset1:205
	ds_load_2addr_b64 v[229:232], v171 offset0:12 offset1:147
	;; [unrolled: 1-line block ×4, first 2 shown]
	v_lshlrev_b32_e32 v99, 3, v99
	v_lshlrev_b32_e32 v97, 3, v97
	s_wait_loadcnt_dscnt 0x1303
	v_mul_f64_e32 v[60:61], v[225:226], v[64:65]
	v_mul_f64_e32 v[64:65], v[36:37], v[64:65]
	s_wait_loadcnt 0x12
	v_mul_f64_e32 v[241:242], v[32:33], v[72:73]
	s_wait_loadcnt 0x11
	v_mul_f64_e32 v[146:147], v[227:228], v[68:69]
	v_mul_f64_e32 v[68:69], v[38:39], v[68:69]
	s_wait_dscnt 0x2
	v_mul_f64_e32 v[187:188], v[229:230], v[72:73]
	s_wait_loadcnt 0x10
	v_mul_f64_e32 v[245:246], v[231:232], v[104:105]
	v_mul_f64_e32 v[104:105], v[34:35], v[104:105]
	s_wait_loadcnt_dscnt 0xf01
	v_mul_f64_e32 v[249:250], v[233:234], v[108:109]
	v_mul_f64_e32 v[108:109], v[28:29], v[108:109]
	s_wait_loadcnt 0xe
	v_mul_f64_e32 v[251:252], v[235:236], v[112:113]
	v_mul_f64_e32 v[112:113], v[30:31], v[112:113]
	s_wait_loadcnt_dscnt 0xc00
	v_mul_f64_e32 v[253:254], v[239:240], v[120:121]
	v_mul_f64_e32 v[120:121], v[26:27], v[120:121]
	v_fma_f64 v[60:61], v[36:37], v[62:63], v[60:61]
	v_fma_f64 v[72:73], v[225:226], v[62:63], -v[64:65]
	v_fma_f64 v[36:37], v[38:39], v[66:67], v[146:147]
	v_fma_f64 v[38:39], v[227:228], v[66:67], -v[68:69]
	ds_load_2addr_b64 v[225:228], v177 offset0:98 offset1:233
	v_fma_f64 v[68:69], v[229:230], v[70:71], -v[241:242]
	ds_load_2addr_b64 v[241:244], v176 offset0:40 offset1:175
	v_mul_f64_e32 v[146:147], v[237:238], v[116:117]
	v_mul_f64_e32 v[116:117], v[24:25], v[116:117]
	v_fma_f64 v[62:63], v[32:33], v[70:71], v[187:188]
	v_fma_f64 v[34:35], v[34:35], v[102:103], v[245:246]
	v_fma_f64 v[32:33], v[231:232], v[102:103], -v[104:105]
	ds_load_2addr_b64 v[102:105], v173 offset0:54 offset1:189
	ds_load_2addr_b64 v[245:248], v172 offset0:112 offset1:247
	v_fma_f64 v[28:29], v[28:29], v[106:107], v[249:250]
	s_wait_loadcnt_dscnt 0xb03
	v_mul_f64_e32 v[187:188], v[225:226], v[124:125]
	v_mul_f64_e32 v[124:125], v[20:21], v[124:125]
	v_fma_f64 v[64:65], v[233:234], v[106:107], -v[108:109]
	s_wait_loadcnt 0x9
	v_mul_f64_e32 v[229:230], v[227:228], v[128:129]
	v_mul_f64_e32 v[128:129], v[22:23], v[128:129]
	s_wait_dscnt 0x2
	v_mul_f64_e32 v[231:232], v[241:242], v[132:133]
	s_wait_loadcnt 0x8
	v_mul_f64_e32 v[233:234], v[243:244], v[136:137]
	v_fma_f64 v[30:31], v[30:31], v[110:111], v[251:252]
	v_fma_f64 v[66:67], v[235:236], v[110:111], -v[112:113]
	ds_load_2addr_b64 v[106:109], v181 offset0:62 offset1:197
	ds_load_2addr_b64 v[110:113], v220 offset0:68 offset1:203
	v_fma_f64 v[26:27], v[26:27], v[118:119], v[253:254]
	v_fma_f64 v[118:119], v[239:240], v[118:119], -v[120:121]
	v_mul_f64_e32 v[132:133], v[12:13], v[132:133]
	v_mul_f64_e32 v[136:137], v[14:15], v[136:137]
	s_wait_loadcnt_dscnt 0x503
	v_mul_f64_e32 v[235:236], v[102:103], v[152:153]
	s_wait_loadcnt 0x4
	v_mul_f64_e32 v[120:121], v[104:105], v[156:157]
	v_fma_f64 v[70:71], v[24:25], v[114:115], v[146:147]
	s_wait_dscnt 0x2
	v_mul_f64_e32 v[146:147], v[245:246], v[140:141]
	v_fma_f64 v[24:25], v[237:238], v[114:115], -v[116:117]
	v_mul_f64_e32 v[114:115], v[247:248], v[144:145]
	v_add_f64_e32 v[116:117], v[60:61], v[62:63]
	s_wait_loadcnt_dscnt 0x301
	v_mul_f64_e32 v[237:238], v[106:107], v[160:161]
	s_wait_loadcnt 0x2
	v_mul_f64_e32 v[239:240], v[108:109], v[164:165]
	v_fma_f64 v[20:21], v[20:21], v[122:123], v[187:188]
	v_fma_f64 v[122:123], v[225:226], v[122:123], -v[124:125]
	s_wait_loadcnt_dscnt 0x100
	v_mul_f64_e32 v[124:125], v[110:111], v[168:169]
	v_add_f64_e32 v[187:188], v[36:37], v[34:35]
	s_wait_loadcnt 0x0
	v_mul_f64_e32 v[225:226], v[112:113], v[223:224]
	v_fma_f64 v[22:23], v[22:23], v[126:127], v[229:230]
	v_fma_f64 v[126:127], v[227:228], v[126:127], -v[128:129]
	v_mul_f64_e32 v[128:129], v[8:9], v[140:141]
	v_fma_f64 v[12:13], v[12:13], v[130:131], v[231:232]
	v_fma_f64 v[14:15], v[14:15], v[134:135], v[233:234]
	v_mul_f64_e32 v[140:141], v[10:11], v[144:145]
	v_mul_f64_e32 v[144:145], v[16:17], v[152:153]
	;; [unrolled: 1-line block ×4, first 2 shown]
	v_fma_f64 v[130:131], v[241:242], v[130:131], -v[132:133]
	v_fma_f64 v[132:133], v[243:244], v[134:135], -v[136:137]
	v_fma_f64 v[16:17], v[16:17], v[150:151], v[235:236]
	v_fma_f64 v[18:19], v[18:19], v[154:155], v[120:121]
	v_mul_f64_e32 v[120:121], v[2:3], v[223:224]
	v_add_f64_e32 v[164:165], v[28:29], v[70:71]
	v_fma_f64 v[8:9], v[8:9], v[138:139], v[146:147]
	v_mul_f64_e32 v[146:147], v[4:5], v[160:161]
	v_mul_f64_e32 v[160:161], v[0:1], v[168:169]
	v_add_f64_e32 v[168:169], v[30:31], v[26:27]
	v_fma_f64 v[10:11], v[10:11], v[142:143], v[114:115]
	v_add_f64_e32 v[114:115], v[58:59], v[60:61]
	v_fma_f64 v[58:59], v[116:117], -0.5, v[58:59]
	v_add_f64_e64 v[116:117], v[72:73], -v[68:69]
	v_fma_f64 v[4:5], v[4:5], v[158:159], v[237:238]
	v_fma_f64 v[6:7], v[6:7], v[162:163], v[239:240]
	v_add_f64_e64 v[60:61], v[60:61], -v[62:63]
	v_fma_f64 v[0:1], v[0:1], v[166:167], v[124:125]
	v_fma_f64 v[187:188], v[187:188], -0.5, v[56:57]
	v_add_f64_e32 v[56:57], v[56:57], v[36:37]
	v_add_f64_e64 v[124:125], v[38:39], -v[32:33]
	v_fma_f64 v[2:3], v[2:3], v[221:222], v[225:226]
	v_fma_f64 v[128:129], v[245:246], v[138:139], -v[128:129]
	v_add_f64_e32 v[134:135], v[20:21], v[12:13]
	v_add_f64_e32 v[138:139], v[22:23], v[14:15]
	v_fma_f64 v[136:137], v[247:248], v[142:143], -v[140:141]
	v_fma_f64 v[102:103], v[102:103], v[150:151], -v[144:145]
	v_add_f64_e64 v[144:145], v[64:65], -v[24:25]
	v_add_f64_e64 v[150:151], v[66:67], -v[118:119]
	v_fma_f64 v[104:105], v[104:105], v[154:155], -v[152:153]
	v_fma_f64 v[108:109], v[108:109], v[162:163], -v[156:157]
	ds_load_b64 v[154:155], v211
	v_fma_f64 v[112:113], v[112:113], v[221:222], -v[120:121]
	v_fma_f64 v[120:121], v[164:165], -0.5, v[52:53]
	v_add_f64_e32 v[52:53], v[52:53], v[28:29]
	v_fma_f64 v[106:107], v[106:107], v[158:159], -v[146:147]
	v_add_f64_e32 v[142:143], v[8:9], v[16:17]
	v_fma_f64 v[146:147], v[168:169], -0.5, v[54:55]
	v_add_f64_e32 v[54:55], v[54:55], v[30:31]
	v_mul_u32_u24_e32 v158, 0x4b0, v86
	v_lshlrev_b32_e32 v159, 3, v87
	v_add_f64_e32 v[86:87], v[10:11], v[18:19]
	v_add_f64_e32 v[114:115], v[114:115], v[62:63]
	v_fma_f64 v[140:141], v[116:117], s[2:3], v[58:59]
	v_fma_f64 v[110:111], v[110:111], v[166:167], -v[160:161]
	s_wait_alu 0xfffe
	v_fma_f64 v[58:59], v[116:117], s[6:7], v[58:59]
	v_add_f64_e64 v[168:169], v[122:123], -v[130:131]
	v_add_f64_e64 v[221:222], v[126:127], -v[132:133]
	v_add3_u32 v194, 0, v158, v159
	v_add_f64_e32 v[231:232], v[46:47], v[8:9]
	ds_load_b64 v[158:159], v218
	ds_load_b64 v[160:161], v219
	;; [unrolled: 1-line block ×5, first 2 shown]
	v_add_f64_e32 v[116:117], v[4:5], v[0:1]
	ds_load_b64 v[223:224], v217
	ds_load_b64 v[225:226], v178
	;; [unrolled: 1-line block ×4, first 2 shown]
	v_add_f64_e32 v[56:57], v[56:57], v[34:35]
	v_fma_f64 v[152:153], v[124:125], s[2:3], v[187:188]
	v_add_f64_e32 v[156:157], v[6:7], v[2:3]
	v_fma_f64 v[124:125], v[124:125], s[6:7], v[187:188]
	v_fma_f64 v[134:135], v[134:135], -0.5, v[48:49]
	v_add_f64_e32 v[48:49], v[48:49], v[20:21]
	v_fma_f64 v[138:139], v[138:139], -0.5, v[50:51]
	v_add_f64_e32 v[50:51], v[50:51], v[22:23]
	v_mul_u32_u24_e32 v187, 0x4b0, v82
	v_lshlrev_b32_e32 v188, 3, v83
	global_wb scope:SCOPE_SE
	s_wait_dscnt 0x0
	s_barrier_signal -1
	s_barrier_wait -1
	global_inv scope:SCOPE_SE
	v_add3_u32 v195, 0, v187, v188
	v_add_f64_e64 v[187:188], v[136:137], -v[104:105]
	ds_store_2addr_b64 v194, v[114:115], v[140:141] offset1:50
	ds_store_b64 v194, v[58:59] offset:800
	ds_store_2addr_b64 v195, v[56:57], v[152:153] offset1:50
	v_add_f64_e32 v[52:53], v[52:53], v[70:71]
	v_fma_f64 v[82:83], v[144:145], s[2:3], v[120:121]
	v_fma_f64 v[120:121], v[144:145], s[6:7], v[120:121]
	v_fma_f64 v[46:47], v[142:143], -0.5, v[46:47]
	v_add_f64_e64 v[142:143], v[128:129], -v[102:103]
	v_add_f64_e32 v[54:55], v[54:55], v[26:27]
	v_fma_f64 v[144:145], v[150:151], s[2:3], v[146:147]
	v_fma_f64 v[86:87], v[86:87], -0.5, v[44:45]
	v_add_f64_e32 v[44:45], v[44:45], v[10:11]
	v_fma_f64 v[116:117], v[116:117], -0.5, v[42:43]
	v_add_f64_e64 v[233:234], v[106:107], -v[110:111]
	v_add_f64_e32 v[42:43], v[42:43], v[4:5]
	v_fma_f64 v[56:57], v[150:151], s[6:7], v[146:147]
	v_fma_f64 v[156:157], v[156:157], -0.5, v[40:41]
	v_add_f64_e64 v[235:236], v[108:109], -v[112:113]
	v_add_f64_e32 v[40:41], v[40:41], v[6:7]
	v_mul_u32_u24_e32 v152, 0x4b0, v85
	v_add_f64_e32 v[48:49], v[48:49], v[12:13]
	v_fma_f64 v[58:59], v[168:169], s[2:3], v[134:135]
	v_mul_u32_u24_e32 v150, 0x4b0, v84
	v_fma_f64 v[84:85], v[168:169], s[6:7], v[134:135]
	v_add_f64_e32 v[50:51], v[50:51], v[14:15]
	v_fma_f64 v[114:115], v[221:222], s[2:3], v[138:139]
	v_fma_f64 v[134:135], v[221:222], s[6:7], v[138:139]
	v_add3_u32 v151, 0, v152, v91
	v_add3_u32 v150, 0, v150, v89
	v_mul_u32_u24_e32 v89, 0x4b0, v90
	v_lshlrev_b32_e32 v90, 3, v93
	ds_store_b64 v195, v[124:125] offset:800
	ds_store_2addr_b64 v151, v[52:53], v[82:83] offset1:50
	ds_store_b64 v151, v[120:121] offset:800
	ds_store_2addr_b64 v150, v[54:55], v[144:145] offset1:50
	v_mul_u32_u24_e32 v120, 0x4b0, v88
	v_lshlrev_b32_e32 v121, 3, v92
	v_add_f64_e32 v[138:139], v[231:232], v[16:17]
	v_fma_f64 v[140:141], v[142:143], s[2:3], v[46:47]
	v_add_f64_e32 v[146:147], v[154:155], v[72:73]
	v_add_f64_e32 v[72:73], v[72:73], v[68:69]
	v_add3_u32 v144, 0, v89, v90
	v_fma_f64 v[46:47], v[142:143], s[6:7], v[46:47]
	v_add3_u32 v142, 0, v120, v121
	v_fma_f64 v[52:53], v[187:188], s[2:3], v[86:87]
	v_add_f64_e32 v[44:45], v[44:45], v[18:19]
	v_add_f64_e32 v[92:93], v[38:39], v[32:33]
	v_fma_f64 v[54:55], v[187:188], s[6:7], v[86:87]
	v_fma_f64 v[82:83], v[233:234], s[2:3], v[116:117]
	v_add_f64_e32 v[42:43], v[42:43], v[0:1]
	ds_store_b64 v150, v[56:57] offset:800
	v_add_f64_e32 v[56:57], v[64:65], v[24:25]
	v_fma_f64 v[86:87], v[233:234], s[6:7], v[116:117]
	v_add3_u32 v143, 0, v101, v100
	v_add_f64_e32 v[100:101], v[136:137], v[104:105]
	v_fma_f64 v[88:89], v[235:236], s[2:3], v[156:157]
	v_add_f64_e32 v[40:41], v[40:41], v[2:3]
	ds_store_2addr_b64 v144, v[48:49], v[58:59] offset1:50
	v_add_f64_e32 v[48:49], v[66:67], v[118:119]
	ds_store_b64 v144, v[84:85] offset:800
	ds_store_2addr_b64 v142, v[50:51], v[114:115] offset1:50
	ds_store_b64 v142, v[134:135] offset:800
	v_add_f64_e32 v[114:115], v[106:107], v[110:111]
	v_fma_f64 v[90:91], v[235:236], s[6:7], v[156:157]
	v_add_f64_e32 v[58:59], v[122:123], v[130:131]
	v_add_f64_e32 v[50:51], v[126:127], v[132:133]
	;; [unrolled: 1-line block ×3, first 2 shown]
	v_mul_u32_u24_e32 v116, 0x4b0, v94
	v_mul_u32_u24_e32 v117, 0x4b0, v95
	v_add_f64_e32 v[94:95], v[108:109], v[112:113]
	v_add_f64_e32 v[38:39], v[158:159], v[38:39]
	v_add_f64_e64 v[34:35], v[36:37], -v[34:35]
	v_add3_u32 v134, 0, v116, v98
	v_add_f64_e32 v[36:37], v[160:161], v[64:65]
	v_add_f64_e64 v[28:29], v[28:29], -v[70:71]
	v_add_f64_e64 v[8:9], v[8:9], -v[16:17]
	v_add_f64_e32 v[16:17], v[225:226], v[136:137]
	ds_store_2addr_b64 v143, v[138:139], v[140:141] offset1:50
	v_add3_u32 v138, 0, v96, v99
	v_fma_f64 v[72:73], v[72:73], -0.5, v[154:155]
	v_add3_u32 v139, 0, v117, v97
	ds_store_b64 v143, v[46:47] offset:800
	ds_store_2addr_b64 v134, v[44:45], v[52:53] offset1:50
	ds_store_b64 v134, v[54:55] offset:800
	ds_store_2addr_b64 v138, v[42:43], v[82:83] offset1:50
	;; [unrolled: 2-line block ×3, first 2 shown]
	ds_store_b64 v139, v[90:91] offset:800
	v_fma_f64 v[40:41], v[92:93], -0.5, v[158:159]
	v_fma_f64 v[42:43], v[56:57], -0.5, v[160:161]
	;; [unrolled: 1-line block ×3, first 2 shown]
	v_add_f64_e64 v[10:11], v[10:11], -v[18:19]
	v_add_f64_e32 v[44:45], v[164:165], v[66:67]
	v_fma_f64 v[46:47], v[48:49], -0.5, v[164:165]
	v_add_f64_e64 v[26:27], v[30:31], -v[26:27]
	v_add_f64_e32 v[18:19], v[227:228], v[106:107]
	v_fma_f64 v[82:83], v[114:115], -0.5, v[227:228]
	;; [unrolled: 3-line block ×5, first 2 shown]
	v_add_f64_e32 v[4:5], v[229:230], v[108:109]
	v_fma_f64 v[84:85], v[94:95], -0.5, v[229:230]
	v_add_f64_e64 v[2:3], v[6:7], -v[2:3]
	v_add_f64_e32 v[68:69], v[146:147], v[68:69]
	v_fma_f64 v[86:87], v[60:61], s[6:7], v[72:73]
	v_fma_f64 v[72:73], v[60:61], s[2:3], v[72:73]
	v_add_f64_e32 v[38:39], v[38:39], v[32:33]
	v_add_f64_e32 v[36:37], v[36:37], v[24:25]
	;; [unrolled: 1-line block ×3, first 2 shown]
	global_wb scope:SCOPE_SE
	s_wait_dscnt 0x0
	s_barrier_signal -1
	s_barrier_wait -1
	global_inv scope:SCOPE_SE
	ds_load_b64 v[64:65], v211
	ds_load_b64 v[62:63], v218
	;; [unrolled: 1-line block ×6, first 2 shown]
	v_dual_mov_b32 v136, 0 :: v_dual_lshlrev_b32 v135, 1, v185
	v_fma_f64 v[88:89], v[34:35], s[6:7], v[40:41]
	v_fma_f64 v[90:91], v[34:35], s[2:3], v[40:41]
	;; [unrolled: 1-line block ×6, first 2 shown]
	v_add_f64_e32 v[44:45], v[44:45], v[118:119]
	v_fma_f64 v[96:97], v[26:27], s[6:7], v[46:47]
	v_add_f64_e32 v[110:111], v[18:19], v[110:111]
	v_fma_f64 v[124:125], v[0:1], s[6:7], v[82:83]
	v_fma_f64 v[46:47], v[26:27], s[2:3], v[46:47]
	v_fma_f64 v[82:83], v[0:1], s[2:3], v[82:83]
	v_add_f64_e32 v[98:99], v[30:31], v[130:131]
	v_fma_f64 v[100:101], v[12:13], s[6:7], v[56:57]
	v_fma_f64 v[106:107], v[12:13], s[2:3], v[56:57]
	v_add_f64_e32 v[108:109], v[20:21], v[132:133]
	v_fma_f64 v[114:115], v[14:15], s[6:7], v[58:59]
	v_fma_f64 v[116:117], v[14:15], s[2:3], v[58:59]
	;; [unrolled: 3-line block ×4, first 2 shown]
	ds_load_b64 v[66:67], v217
	ds_load_b64 v[56:57], v178
	;; [unrolled: 1-line block ×4, first 2 shown]
	ds_load_2addr_b64 v[40:43], v170 offset0:70 offset1:205
	ds_load_2addr_b64 v[32:35], v171 offset0:12 offset1:147
	;; [unrolled: 1-line block ×10, first 2 shown]
	global_wb scope:SCOPE_SE
	s_wait_dscnt 0x0
	s_barrier_signal -1
	s_barrier_wait -1
	global_inv scope:SCOPE_SE
	ds_store_2addr_b64 v194, v[68:69], v[86:87] offset1:50
	ds_store_b64 v194, v[72:73] offset:800
	ds_store_2addr_b64 v195, v[38:39], v[88:89] offset1:50
	ds_store_b64 v195, v[90:91] offset:800
	;; [unrolled: 2-line block ×7, first 2 shown]
	v_add_nc_u32_e32 v36, -15, v185
	ds_store_2addr_b64 v134, v[104:105], v[122:123] offset1:50
	ds_store_b64 v134, v[70:71] offset:800
	ds_store_2addr_b64 v138, v[110:111], v[124:125] offset1:50
	ds_store_b64 v138, v[82:83] offset:800
	v_mov_b32_e32 v39, v136
	ds_store_2addr_b64 v139, v[112:113], v[126:127] offset1:50
	ds_store_b64 v139, v[84:85] offset:800
	s_wait_alu 0xf1ff
	v_cndmask_b32_e64 v82, v36, v203, s0
	v_lshlrev_b64_e32 v[36:37], 4, v[135:136]
	global_wb scope:SCOPE_SE
	s_wait_dscnt 0x0
	s_barrier_signal -1
	s_barrier_wait -1
	v_lshlrev_b32_e32 v38, 1, v82
	global_inv scope:SCOPE_SE
	v_add_co_u32 v137, s0, s4, v36
	s_wait_alu 0xf1ff
	v_add_co_ci_u32_e64 v138, s0, s5, v37, s0
	v_lshlrev_b64_e32 v[36:37], 4, v[38:39]
	v_mul_u32_u24_e32 v38, 0xda75, v77
	v_mul_u32_u24_e32 v39, 0xda75, v74
	s_clause 0x1
	global_load_b128 v[70:73], v[137:138], off offset:2240
	global_load_b128 v[96:99], v[137:138], off offset:2256
	v_mul_u32_u24_e32 v69, 0xda75, v80
	v_add_co_u32 v36, s0, s4, v36
	s_wait_alu 0xf1ff
	v_add_co_ci_u32_e64 v37, s0, s5, v37, s0
	v_lshrrev_b32_e32 v87, 22, v38
	v_lshrrev_b32_e32 v85, 22, v39
	v_mul_u32_u24_e32 v39, 0xda75, v78
	s_clause 0x1
	global_load_b128 v[92:95], v[36:37], off offset:2240
	global_load_b128 v[100:103], v[36:37], off offset:2256
	v_mul_lo_u16 v38, 0x96, v87
	v_mul_u32_u24_e32 v37, 0xda75, v75
	v_lshrrev_b32_e32 v89, 22, v39
	v_mul_lo_u16 v44, 0x96, v85
	v_lshrrev_b32_e32 v91, 22, v69
	v_sub_nc_u16 v38, v202, v38
	v_lshrrev_b32_e32 v90, 22, v37
	v_mul_u32_u24_e32 v69, 0xda75, v81
	v_sub_nc_u16 v36, v204, v44
	v_mul_u32_u24_e32 v74, 0xda75, v76
	v_and_b32_e32 v83, 0xffff, v38
	v_mul_lo_u16 v38, 0x96, v89
	v_mul_lo_u16 v68, 0x96, v90
	v_and_b32_e32 v86, 0xffff, v36
	v_lshrrev_b32_e32 v78, 22, v74
	v_lshlrev_b32_e32 v36, 5, v83
	v_sub_nc_u16 v44, v205, v38
	v_sub_nc_u16 v68, v206, v68
	v_lshlrev_b32_e32 v45, 5, v86
	s_clause 0x1
	global_load_b128 v[104:107], v36, s[4:5] offset:2240
	global_load_b128 v[36:39], v36, s[4:5] offset:2256
	v_and_b32_e32 v88, 0xffff, v44
	v_and_b32_e32 v134, 0xffff, v68
	v_mul_u32_u24_e32 v68, 0xda75, v79
	v_lshrrev_b32_e32 v79, 22, v69
	global_load_b128 v[108:111], v45, s[4:5] offset:2240
	v_lshlrev_b32_e32 v75, 5, v88
	v_lshlrev_b32_e32 v69, 5, v134
	s_clause 0x4
	global_load_b128 v[44:47], v45, s[4:5] offset:2256
	global_load_b128 v[112:115], v75, s[4:5] offset:2240
	;; [unrolled: 1-line block ×5, first 2 shown]
	v_mul_lo_u16 v74, 0x96, v91
	v_mul_lo_u16 v76, 0x96, v78
	v_lshrrev_b32_e32 v68, 22, v68
	v_mul_lo_u16 v77, 0x96, v79
	v_cmp_lt_u32_e64 s0, 14, v185
	v_sub_nc_u16 v74, v207, v74
	v_sub_nc_u16 v76, v208, v76
	v_mul_lo_u16 v68, 0x96, v68
	v_lshlrev_b32_e32 v82, 3, v82
	v_mul_u32_u24_e32 v87, 0xe10, v87
	v_and_b32_e32 v147, 0xffff, v74
	v_sub_nc_u16 v74, v209, v77
	v_and_b32_e32 v81, 0xffff, v76
	v_sub_nc_u16 v68, v210, v68
	v_mul_u32_u24_e32 v85, 0xe10, v85
	v_lshlrev_b32_e32 v75, 5, v147
	v_and_b32_e32 v84, 0xffff, v74
	v_lshlrev_b32_e32 v76, 5, v81
	v_and_b32_e32 v80, 0xffff, v68
	s_clause 0x2
	global_load_b128 v[128:131], v75, s[4:5] offset:2240
	global_load_b128 v[139:142], v76, s[4:5] offset:2240
	;; [unrolled: 1-line block ×3, first 2 shown]
	v_lshlrev_b32_e32 v68, 5, v84
	v_lshlrev_b32_e32 v69, 5, v80
	s_clause 0x4
	global_load_b128 v[150:153], v76, s[4:5] offset:2256
	global_load_b128 v[154:157], v68, s[4:5] offset:2240
	;; [unrolled: 1-line block ×5, first 2 shown]
	ds_load_2addr_b64 v[74:77], v170 offset0:70 offset1:205
	ds_load_2addr_b64 v[221:224], v171 offset0:12 offset1:147
	;; [unrolled: 1-line block ×7, first 2 shown]
	v_lshlrev_b32_e32 v86, 3, v86
	v_lshlrev_b32_e32 v134, 3, v134
	v_mul_u32_u24_e32 v91, 0xe10, v91
	v_lshlrev_b32_e32 v147, 3, v147
	s_delay_alu instid0(VALU_DEP_1)
	v_add3_u32 v147, 0, v91, v147
	s_wait_loadcnt_dscnt 0x1306
	v_mul_f64_e32 v[68:69], v[74:75], v[72:73]
	v_mul_f64_e32 v[72:73], v[40:41], v[72:73]
	s_wait_loadcnt_dscnt 0x1205
	v_mul_f64_e32 v[187:188], v[221:222], v[98:99]
	v_mul_f64_e32 v[98:99], v[32:33], v[98:99]
	s_wait_loadcnt 0x11
	v_mul_f64_e32 v[132:133], v[76:77], v[94:95]
	v_mul_f64_e32 v[94:95], v[42:43], v[94:95]
	s_wait_loadcnt 0x10
	v_mul_f64_e32 v[249:250], v[223:224], v[102:103]
	v_mul_f64_e32 v[102:103], v[34:35], v[102:103]
	s_wait_loadcnt_dscnt 0xf04
	v_mul_f64_e32 v[251:252], v[225:226], v[106:107]
	v_mul_f64_e32 v[106:107], v[28:29], v[106:107]
	s_wait_loadcnt 0xd
	v_mul_f64_e32 v[253:254], v[227:228], v[110:111]
	v_fma_f64 v[68:69], v[40:41], v[70:71], v[68:69]
	v_fma_f64 v[194:195], v[74:75], v[70:71], -v[72:73]
	v_mul_f64_e32 v[74:75], v[30:31], v[110:111]
	v_fma_f64 v[70:71], v[32:33], v[96:97], v[187:188]
	s_wait_dscnt 0x3
	v_mul_f64_e32 v[110:111], v[229:230], v[38:39]
	s_wait_loadcnt_dscnt 0xb02
	v_mul_f64_e32 v[187:188], v[233:234], v[114:115]
	v_fma_f64 v[40:41], v[42:43], v[92:93], v[132:133]
	v_fma_f64 v[42:43], v[76:77], v[92:93], -v[94:95]
	v_fma_f64 v[76:77], v[221:222], v[96:97], -v[98:99]
	v_mul_f64_e32 v[132:133], v[231:232], v[46:47]
	v_fma_f64 v[34:35], v[34:35], v[100:101], v[249:250]
	s_wait_loadcnt 0x9
	v_mul_f64_e32 v[221:222], v[235:236], v[122:123]
	v_fma_f64 v[32:33], v[223:224], v[100:101], -v[102:103]
	s_wait_dscnt 0x1
	v_mul_f64_e32 v[100:101], v[237:238], v[118:119]
	s_wait_loadcnt 0x8
	v_mul_f64_e32 v[102:103], v[239:240], v[126:127]
	ds_load_2addr_b64 v[92:95], v173 offset0:54 offset1:189
	ds_load_2addr_b64 v[245:248], v181 offset0:62 offset1:197
	ds_load_2addr_b64 v[96:99], v220 offset0:68 offset1:203
	v_mul_f64_e32 v[46:47], v[26:27], v[46:47]
	v_mul_f64_e32 v[118:119], v[16:17], v[118:119]
	s_wait_loadcnt_dscnt 0x703
	v_mul_f64_e32 v[223:224], v[241:242], v[130:131]
	s_wait_loadcnt 0x6
	v_mul_f64_e32 v[249:250], v[243:244], v[141:142]
	v_fma_f64 v[28:29], v[28:29], v[104:105], v[251:252]
	v_fma_f64 v[72:73], v[225:226], v[104:105], -v[106:107]
	v_fma_f64 v[30:31], v[30:31], v[108:109], v[253:254]
	s_wait_loadcnt_dscnt 0x502
	v_mul_f64_e32 v[104:105], v[92:93], v[145:146]
	s_wait_loadcnt 0x4
	v_mul_f64_e32 v[106:107], v[94:95], v[152:153]
	s_wait_loadcnt_dscnt 0x301
	v_mul_f64_e32 v[225:226], v[245:246], v[156:157]
	s_wait_loadcnt 0x2
	v_mul_f64_e32 v[251:252], v[247:248], v[160:161]
	v_fma_f64 v[74:75], v[227:228], v[108:109], -v[74:75]
	v_mul_f64_e32 v[108:109], v[24:25], v[38:39]
	v_fma_f64 v[38:39], v[24:25], v[36:37], v[110:111]
	v_mul_f64_e32 v[110:111], v[20:21], v[114:115]
	v_mul_f64_e32 v[114:115], v[22:23], v[122:123]
	;; [unrolled: 1-line block ×4, first 2 shown]
	v_mul_u32_u24_e32 v145, 0xe10, v89
	v_mul_u32_u24_e32 v146, 0xe10, v90
	v_fma_f64 v[24:25], v[26:27], v[44:45], v[132:133]
	v_fma_f64 v[26:27], v[20:21], v[112:113], v[187:188]
	;; [unrolled: 1-line block ×3, first 2 shown]
	s_wait_loadcnt_dscnt 0x0
	v_mul_f64_e32 v[132:133], v[98:99], v[168:169]
	v_fma_f64 v[22:23], v[16:17], v[116:117], v[100:101]
	v_fma_f64 v[16:17], v[18:19], v[124:125], v[102:103]
	v_mul_f64_e32 v[18:19], v[96:97], v[164:165]
	v_mul_f64_e32 v[100:101], v[12:13], v[130:131]
	v_fma_f64 v[44:45], v[231:232], v[44:45], -v[46:47]
	v_add_f64_e32 v[46:47], v[40:41], v[34:35]
	v_fma_f64 v[116:117], v[237:238], v[116:117], -v[118:119]
	v_add3_u32 v232, 0, v85, v86
	v_add_f64_e32 v[85:86], v[64:65], v[68:69]
	v_add3_u32 v134, 0, v146, v134
	v_fma_f64 v[12:13], v[12:13], v[128:129], v[223:224]
	v_fma_f64 v[102:103], v[14:15], v[139:140], v[249:250]
	v_mul_f64_e32 v[14:15], v[14:15], v[141:142]
	s_wait_alu 0xf1ff
	v_cndmask_b32_e64 v141, 0, 0xe10, s0
	v_lshl_add_u32 v238, v185, 3, 0
	s_delay_alu instid0(VALU_DEP_2)
	v_add3_u32 v249, 0, v141, v82
	v_fma_f64 v[8:9], v[8:9], v[143:144], v[104:105]
	v_fma_f64 v[104:105], v[10:11], v[150:151], v[106:107]
	v_mul_f64_e32 v[10:11], v[10:11], v[152:153]
	v_mul_f64_e32 v[106:107], v[4:5], v[156:157]
	v_fma_f64 v[4:5], v[4:5], v[154:155], v[225:226]
	v_fma_f64 v[130:131], v[6:7], v[158:159], v[251:252]
	v_mul_f64_e32 v[6:7], v[6:7], v[160:161]
	v_fma_f64 v[89:90], v[229:230], v[36:37], -v[108:109]
	v_add_f64_e32 v[36:37], v[68:69], v[70:71]
	v_fma_f64 v[108:109], v[233:234], v[112:113], -v[110:111]
	v_add_f64_e32 v[110:111], v[28:29], v[38:39]
	v_fma_f64 v[112:113], v[235:236], v[120:121], -v[114:115]
	v_fma_f64 v[120:121], v[239:240], v[124:125], -v[122:123]
	v_add_f64_e32 v[114:115], v[30:31], v[24:25]
	v_fma_f64 v[92:93], v[92:93], v[143:144], -v[126:127]
	v_lshlrev_b32_e32 v126, 3, v83
	v_fma_f64 v[132:133], v[2:3], v[166:167], v[132:133]
	v_mul_f64_e32 v[2:3], v[2:3], v[168:169]
	v_add_f64_e32 v[118:119], v[26:27], v[22:23]
	v_fma_f64 v[18:19], v[0:1], v[162:163], v[18:19]
	v_mul_f64_e32 v[0:1], v[0:1], v[164:165]
	v_add_f64_e32 v[122:123], v[20:21], v[16:17]
	v_fma_f64 v[100:101], v[241:242], v[128:129], -v[100:101]
	v_lshlrev_b32_e32 v152, 3, v88
	v_add3_u32 v231, 0, v87, v126
	v_add_f64_e64 v[87:88], v[194:195], -v[76:77]
	v_add_f64_e32 v[128:129], v[54:55], v[30:31]
	v_fma_f64 v[46:47], v[46:47], -0.5, v[62:63]
	v_add_f64_e32 v[126:127], v[52:53], v[28:29]
	v_fma_f64 v[14:15], v[243:244], v[139:140], -v[14:15]
	v_add_f64_e32 v[139:140], v[50:51], v[26:27]
	v_add_f64_e32 v[141:142], v[66:67], v[20:21]
	v_add_f64_e32 v[164:165], v[56:57], v[102:103]
	v_add_f64_e32 v[85:86], v[85:86], v[70:71]
	v_add3_u32 v233, 0, v145, v152
	v_add_f64_e32 v[225:226], v[42:43], v[32:33]
	v_add_f64_e64 v[28:29], v[28:29], -v[38:39]
	v_add_f64_e32 v[124:125], v[12:13], v[8:9]
	v_fma_f64 v[10:11], v[94:95], v[150:151], -v[10:11]
	v_add_f64_e32 v[94:95], v[102:103], v[104:105]
	v_fma_f64 v[82:83], v[245:246], v[154:155], -v[106:107]
	;; [unrolled: 2-line block ×3, first 2 shown]
	v_add_f64_e64 v[62:63], v[72:73], -v[89:90]
	v_fma_f64 v[36:37], v[36:37], -0.5, v[64:65]
	v_add_f64_e64 v[64:65], v[42:43], -v[32:33]
	v_fma_f64 v[52:53], v[110:111], -0.5, v[52:53]
	v_add_f64_e64 v[110:111], v[74:75], -v[44:45]
	v_add_f64_e32 v[168:169], v[60:61], v[130:131]
	v_fma_f64 v[54:55], v[114:115], -0.5, v[54:55]
	v_add_f64_e64 v[114:115], v[108:109], -v[116:117]
	v_add_f64_e32 v[227:228], v[72:73], v[89:90]
	v_add_f64_e32 v[229:230], v[108:109], v[116:117]
	v_fma_f64 v[2:3], v[98:99], v[166:167], -v[2:3]
	v_add_f64_e32 v[98:99], v[130:131], v[132:133]
	v_fma_f64 v[50:51], v[118:119], -0.5, v[50:51]
	v_fma_f64 v[0:1], v[96:97], v[162:163], -v[0:1]
	v_add_f64_e32 v[96:97], v[4:5], v[18:19]
	v_add_f64_e64 v[118:119], v[112:113], -v[120:121]
	v_fma_f64 v[66:67], v[122:123], -0.5, v[66:67]
	v_add_f64_e32 v[122:123], v[48:49], v[12:13]
	v_add_f64_e64 v[143:144], v[100:101], -v[92:93]
	v_add_f64_e32 v[166:167], v[58:59], v[4:5]
	v_add_f64_e64 v[4:5], v[4:5], -v[18:19]
	v_add_nc_u32_e32 v246, 0x2c00, v238
	v_add_nc_u32_e32 v247, 0x3800, v238
	;; [unrolled: 1-line block ×3, first 2 shown]
	v_add_f64_e32 v[164:165], v[164:165], v[104:105]
	v_fma_f64 v[48:49], v[124:125], -0.5, v[48:49]
	ds_load_b64 v[124:125], v211
	ds_load_b64 v[145:146], v218
	;; [unrolled: 1-line block ×6, first 2 shown]
	v_add_f64_e64 v[158:159], v[14:15], -v[10:11]
	v_fma_f64 v[56:57], v[94:95], -0.5, v[56:57]
	v_add_f64_e32 v[94:95], v[106:107], v[34:35]
	v_add_f64_e32 v[106:107], v[139:140], v[22:23]
	v_add_f64_e64 v[34:35], v[40:41], -v[34:35]
	v_add_f64_e64 v[22:23], v[26:27], -v[22:23]
	s_wait_dscnt 0x5
	v_add_f64_e32 v[139:140], v[124:125], v[194:195]
	v_add_f64_e64 v[162:163], v[6:7], -v[2:3]
	v_fma_f64 v[60:61], v[98:99], -0.5, v[60:61]
	v_add_f64_e32 v[98:99], v[128:129], v[24:25]
	v_add_f64_e64 v[160:161], v[82:83], -v[0:1]
	v_fma_f64 v[58:59], v[96:97], -0.5, v[58:59]
	v_fma_f64 v[128:129], v[87:88], s[2:3], v[36:37]
	v_fma_f64 v[36:37], v[87:88], s[6:7], v[36:37]
	;; [unrolled: 1-line block ×4, first 2 shown]
	v_add_f64_e32 v[96:97], v[126:127], v[38:39]
	v_fma_f64 v[64:65], v[62:63], s[2:3], v[52:53]
	v_fma_f64 v[52:53], v[62:63], s[6:7], v[52:53]
	;; [unrolled: 1-line block ×6, first 2 shown]
	v_add_f64_e32 v[126:127], v[141:142], v[16:17]
	v_fma_f64 v[114:115], v[118:119], s[2:3], v[66:67]
	v_fma_f64 v[66:67], v[118:119], s[6:7], v[66:67]
	v_add_f64_e32 v[141:142], v[194:195], v[76:77]
	v_add_f64_e32 v[118:119], v[122:123], v[8:9]
	v_fma_f64 v[122:123], v[143:144], s[2:3], v[48:49]
	v_fma_f64 v[48:49], v[143:144], s[6:7], v[48:49]
	v_add_f64_e32 v[143:144], v[168:169], v[132:133]
	v_fma_f64 v[168:169], v[158:159], s[2:3], v[56:57]
	v_fma_f64 v[56:57], v[158:159], s[6:7], v[56:57]
	v_add_f64_e32 v[166:167], v[166:167], v[18:19]
	ds_load_b64 v[187:188], v217
	ds_load_b64 v[194:195], v178
	ds_load_b64 v[221:222], v179
	ds_load_b64 v[223:224], v180
	global_wb scope:SCOPE_SE
	s_wait_dscnt 0x0
	s_barrier_signal -1
	s_barrier_wait -1
	global_inv scope:SCOPE_SE
	ds_store_2addr_b64 v211, v[85:86], v[128:129] offset1:150
	ds_store_b64 v211, v[36:37] offset:2400
	ds_store_2addr_b64 v249, v[94:95], v[87:88] offset1:150
	ds_store_b64 v249, v[46:47] offset:2400
	;; [unrolled: 2-line block ×6, first 2 shown]
	v_fma_f64 v[158:159], v[160:161], s[2:3], v[58:59]
	v_fma_f64 v[58:59], v[160:161], s[6:7], v[58:59]
	;; [unrolled: 1-line block ×4, first 2 shown]
	v_add_f64_e32 v[162:163], v[74:75], v[44:45]
	v_add_f64_e32 v[36:37], v[112:113], v[120:121]
	;; [unrolled: 1-line block ×6, first 2 shown]
	v_mul_u32_u24_e32 v66, 0xe10, v78
	v_lshlrev_b32_e32 v67, 3, v81
	v_add_f64_e32 v[46:47], v[139:140], v[76:77]
	v_mul_u32_u24_e32 v76, 0xe10, v79
	v_lshlrev_b32_e32 v77, 3, v84
	v_lshl_add_u32 v106, v80, 3, 0
	v_add3_u32 v107, 0, v66, v67
	v_fma_f64 v[52:53], v[141:142], -0.5, v[124:125]
	v_add_f64_e64 v[66:67], v[68:69], -v[70:71]
	v_add3_u32 v110, 0, v76, v77
	ds_store_b64 v147, v[48:49] offset:2400
	v_add_f64_e32 v[42:43], v[145:146], v[42:43]
	v_fma_f64 v[48:49], v[225:226], -0.5, v[145:146]
	v_add_nc_u32_e32 v111, 0x7000, v106
	ds_store_2addr_b64 v147, v[118:119], v[122:123] offset1:150
	ds_store_2addr_b64 v107, v[164:165], v[168:169] offset1:150
	ds_store_b64 v107, v[56:57] offset:2400
	ds_store_2addr_b64 v110, v[166:167], v[158:159] offset1:150
	ds_store_b64 v110, v[58:59] offset:2400
	ds_store_2addr_b64 v111, v[143:144], v[160:161] offset0:16 offset1:166
	ds_store_b64 v106, v[60:61] offset:31200
	v_add_f64_e32 v[40:41], v[150:151], v[72:73]
	v_fma_f64 v[56:57], v[227:228], -0.5, v[150:151]
	v_add_f64_e32 v[58:59], v[154:155], v[74:75]
	v_add_f64_e64 v[24:25], v[30:31], -v[24:25]
	v_add_f64_e32 v[30:31], v[152:153], v[108:109]
	v_fma_f64 v[60:61], v[162:163], -0.5, v[154:155]
	v_fma_f64 v[68:69], v[229:230], -0.5, v[152:153]
	v_add_f64_e32 v[26:27], v[187:188], v[112:113]
	v_fma_f64 v[70:71], v[36:37], -0.5, v[187:188]
	v_add_f64_e64 v[16:17], v[20:21], -v[16:17]
	v_add_f64_e32 v[20:21], v[156:157], v[100:101]
	v_fma_f64 v[50:51], v[50:51], -0.5, v[156:157]
	v_add_f64_e64 v[8:9], v[12:13], -v[8:9]
	;; [unrolled: 3-line block ×3, first 2 shown]
	v_add_f64_e32 v[72:73], v[221:222], v[82:83]
	v_fma_f64 v[62:63], v[62:63], -0.5, v[221:222]
	v_add_f64_e32 v[6:7], v[223:224], v[6:7]
	v_fma_f64 v[18:19], v[64:65], -0.5, v[223:224]
	v_add_f64_e64 v[64:65], v[130:131], -v[132:133]
	v_fma_f64 v[74:75], v[66:67], s[6:7], v[52:53]
	v_fma_f64 v[52:53], v[66:67], s[2:3], v[52:53]
	v_add_f64_e32 v[42:43], v[42:43], v[32:33]
	v_fma_f64 v[66:67], v[34:35], s[6:7], v[48:49]
	v_fma_f64 v[48:49], v[34:35], s[2:3], v[48:49]
	global_wb scope:SCOPE_SE
	s_wait_dscnt 0x0
	s_barrier_signal -1
	s_barrier_wait -1
	global_inv scope:SCOPE_SE
	ds_load_b64 v[160:161], v211
	ds_load_2addr_b64 v[36:39], v170 offset0:70 offset1:205
	ds_load_b64 v[154:155], v218
	ds_load_b64 v[152:153], v219
	;; [unrolled: 1-line block ×5, first 2 shown]
	v_add_f64_e32 v[40:41], v[40:41], v[89:90]
	v_fma_f64 v[76:77], v[28:29], s[6:7], v[56:57]
	v_fma_f64 v[56:57], v[28:29], s[2:3], v[56:57]
	v_add_f64_e32 v[44:45], v[58:59], v[44:45]
	v_add_f64_e32 v[78:79], v[30:31], v[116:117]
	v_fma_f64 v[58:59], v[24:25], s[6:7], v[60:61]
	v_fma_f64 v[60:61], v[24:25], s[2:3], v[60:61]
	;; [unrolled: 1-line block ×4, first 2 shown]
	v_add_f64_e32 v[82:83], v[26:27], v[120:121]
	v_fma_f64 v[84:85], v[16:17], s[6:7], v[70:71]
	v_fma_f64 v[70:71], v[16:17], s[2:3], v[70:71]
	v_add_f64_e32 v[86:87], v[20:21], v[92:93]
	v_fma_f64 v[88:89], v[8:9], s[6:7], v[50:51]
	v_fma_f64 v[50:51], v[8:9], s[2:3], v[50:51]
	;; [unrolled: 3-line block ×5, first 2 shown]
	ds_load_b64 v[164:165], v217
	ds_load_b64 v[162:163], v178
	;; [unrolled: 1-line block ×4, first 2 shown]
	ds_load_2addr_b64 v[32:35], v171 offset0:12 offset1:147
	ds_load_2addr_b64 v[28:31], v175 offset0:84 offset1:219
	;; [unrolled: 1-line block ×9, first 2 shown]
	global_wb scope:SCOPE_SE
	s_wait_dscnt 0x0
	s_barrier_signal -1
	s_barrier_wait -1
	global_inv scope:SCOPE_SE
	ds_store_2addr_b64 v211, v[46:47], v[74:75] offset1:150
	ds_store_b64 v211, v[52:53] offset:2400
	ds_store_2addr_b64 v249, v[42:43], v[66:67] offset1:150
	ds_store_b64 v249, v[48:49] offset:2400
	;; [unrolled: 2-line block ×8, first 2 shown]
	v_dual_mov_b32 v41, v136 :: v_dual_lshlrev_b32 v40, 1, v203
	ds_store_2addr_b64 v110, v[72:73], v[94:95] offset1:150
	ds_store_b64 v110, v[62:63] offset:2400
	ds_store_2addr_b64 v111, v[96:97], v[98:99] offset0:16 offset1:166
	ds_store_b64 v106, v[64:65] offset:31200
	v_lshlrev_b64_e32 v[40:41], 4, v[40:41]
	global_wb scope:SCOPE_SE
	s_wait_dscnt 0x0
	s_barrier_signal -1
	s_barrier_wait -1
	global_inv scope:SCOPE_SE
	s_clause 0x1
	global_load_b128 v[48:51], v[137:138], off offset:7040
	global_load_b128 v[68:71], v[137:138], off offset:7056
	v_add_co_u32 v144, s0, s4, v40
	s_wait_alu 0xf1ff
	v_add_co_ci_u32_e64 v145, s0, s5, v41, s0
	v_subrev_nc_u32_e32 v40, 45, v185
	v_cmp_gt_u32_e64 s0, 45, v185
	v_mov_b32_e32 v41, v136
	global_load_b128 v[64:67], v[144:145], off offset:7040
	v_dual_mov_b32 v45, v136 :: v_dual_add_nc_u32 v54, 0xb4, v135
	s_wait_alu 0xf1ff
	v_cndmask_b32_e64 v143, v40, v204, s0
	v_dual_mov_b32 v55, v136 :: v_dual_lshlrev_b32 v40, 1, v202
	v_add_nc_u32_e32 v135, 0x1c2, v135
	v_and_b32_e32 v76, 0xffff, v207
	s_delay_alu instid0(VALU_DEP_4) | instskip(NEXT) | instid1(VALU_DEP_4)
	v_lshlrev_b32_e32 v44, 1, v143
	v_lshlrev_b64_e32 v[46:47], 4, v[40:41]
	global_load_b128 v[40:43], v[144:145], off offset:7056
	v_lshlrev_b64_e32 v[72:73], 4, v[54:55]
	v_lshlrev_b64_e32 v[74:75], 4, v[135:136]
	;; [unrolled: 1-line block ×3, first 2 shown]
	v_and_b32_e32 v77, 0xffff, v208
	v_add_co_u32 v146, s0, s4, v46
	s_wait_alu 0xf1ff
	v_add_co_ci_u32_e64 v147, s0, s5, v47, s0
	s_delay_alu instid0(VALU_DEP_4)
	v_add_co_u32 v52, s0, s4, v44
	s_wait_alu 0xf1ff
	v_add_co_ci_u32_e64 v53, s0, s5, v45, s0
	global_load_b128 v[44:47], v[146:147], off offset:7040
	v_add_co_u32 v80, s0, s4, v72
	s_clause 0x1
	global_load_b128 v[56:59], v[146:147], off offset:7056
	global_load_b128 v[60:63], v[52:53], off offset:7040
	s_wait_alu 0xf1ff
	v_add_co_ci_u32_e64 v81, s0, s5, v73, s0
	v_mul_u32_u24_e32 v72, 0x91a3, v76
	v_mul_u32_u24_e32 v73, 0x91a3, v77
	v_add_co_u32 v84, s0, s4, v74
	s_wait_alu 0xf1ff
	v_add_co_ci_u32_e64 v85, s0, s5, v75, s0
	global_load_b128 v[52:55], v[52:53], off offset:7056
	v_lshrrev_b32_e32 v169, 24, v72
	v_lshrrev_b32_e32 v82, 24, v73
	s_clause 0x1
	global_load_b128 v[72:75], v[80:81], off offset:7040
	global_load_b128 v[76:79], v[84:85], off offset:7040
	v_and_b32_e32 v83, 0xffff, v209
	v_and_b32_e32 v86, 0xffff, v210
	v_mul_lo_u16 v87, 0x1c2, v169
	v_mul_lo_u16 v82, 0x1c2, v82
	v_mul_u32_u24_e32 v169, 0x2a30, v169
	v_mul_u32_u24_e32 v83, 0x91a3, v83
	;; [unrolled: 1-line block ×3, first 2 shown]
	v_sub_nc_u16 v87, v207, v87
	v_sub_nc_u16 v88, v208, v82
	v_cmp_lt_u32_e64 s0, 44, v185
	v_lshrrev_b32_e32 v89, 24, v83
	global_load_b128 v[80:83], v[80:81], off offset:7056
	v_lshrrev_b32_e32 v86, 24, v86
	v_and_b32_e32 v221, 0xffff, v87
	v_and_b32_e32 v166, 0xffff, v88
	v_mul_lo_u16 v87, 0x1c2, v89
	global_load_b128 v[88:91], v[84:85], off offset:7056
	v_mul_lo_u16 v84, 0x1c2, v86
	v_lshlrev_b32_e32 v96, 5, v221
	v_lshlrev_b32_e32 v100, 5, v166
	v_sub_nc_u16 v97, v209, v87
	v_lshl_add_u32 v250, v166, 3, 0
	v_sub_nc_u16 v98, v210, v84
	s_clause 0x2
	global_load_b128 v[92:95], v96, s[4:5] offset:7040
	global_load_b128 v[84:87], v100, s[4:5] offset:7040
	;; [unrolled: 1-line block ×3, first 2 shown]
	v_and_b32_e32 v167, 0xffff, v97
	v_lshlrev_b32_e32 v221, 3, v221
	v_and_b32_e32 v168, 0xffff, v98
	global_load_b128 v[96:99], v96, s[4:5] offset:7056
	s_wait_alu 0xf1ff
	v_cndmask_b32_e64 v239, 0, 0x2a30, s0
	v_lshlrev_b32_e32 v112, 5, v167
	v_lshl_add_u32 v251, v167, 3, 0
	v_lshlrev_b32_e32 v116, 5, v168
	s_clause 0x3
	global_load_b128 v[104:107], v112, s[4:5] offset:7040
	global_load_b128 v[108:111], v116, s[4:5] offset:7040
	;; [unrolled: 1-line block ×4, first 2 shown]
	ds_load_2addr_b64 v[222:225], v170 offset0:70 offset1:205
	ds_load_2addr_b64 v[128:131], v171 offset0:12 offset1:147
	;; [unrolled: 1-line block ×5, first 2 shown]
	v_add3_u32 v249, 0, v169, v221
	v_lshl_add_u32 v252, v168, 3, 0
	v_lshlrev_b32_e32 v143, 3, v143
	s_delay_alu instid0(VALU_DEP_1)
	v_add3_u32 v143, 0, v239, v143
	s_wait_loadcnt_dscnt 0x1304
	v_mul_f64_e32 v[187:188], v[222:223], v[50:51]
	v_mul_f64_e32 v[194:195], v[36:37], v[50:51]
	s_wait_loadcnt_dscnt 0x1203
	v_mul_f64_e32 v[228:229], v[128:129], v[70:71]
	v_mul_f64_e32 v[70:71], v[32:33], v[70:71]
	s_wait_loadcnt 0x11
	v_mul_f64_e32 v[226:227], v[224:225], v[66:67]
	v_mul_f64_e32 v[66:67], v[38:39], v[66:67]
	s_wait_loadcnt 0x10
	v_mul_f64_e32 v[230:231], v[130:131], v[42:43]
	v_mul_f64_e32 v[42:43], v[34:35], v[42:43]
	s_wait_loadcnt_dscnt 0xf02
	v_mul_f64_e32 v[50:51], v[132:133], v[46:47]
	v_mul_f64_e32 v[46:47], v[28:29], v[46:47]
	s_wait_loadcnt_dscnt 0xe01
	v_mul_f64_e32 v[236:237], v[124:125], v[58:59]
	s_wait_loadcnt 0xd
	v_mul_f64_e32 v[232:233], v[134:135], v[62:63]
	v_mul_f64_e32 v[234:235], v[30:31], v[62:63]
	;; [unrolled: 1-line block ×3, first 2 shown]
	v_fma_f64 v[187:188], v[36:37], v[48:49], v[187:188]
	v_fma_f64 v[48:49], v[222:223], v[48:49], -v[194:195]
	s_wait_loadcnt 0xc
	v_mul_f64_e32 v[194:195], v[126:127], v[54:55]
	v_mul_f64_e32 v[54:55], v[26:27], v[54:55]
	v_fma_f64 v[222:223], v[38:39], v[64:65], v[226:227]
	v_fma_f64 v[66:67], v[224:225], v[64:65], -v[66:67]
	s_wait_loadcnt_dscnt 0xb00
	v_mul_f64_e32 v[224:225], v[120:121], v[74:75]
	v_mul_f64_e32 v[74:75], v[20:21], v[74:75]
	v_fma_f64 v[226:227], v[32:33], v[68:69], v[228:229]
	v_fma_f64 v[68:69], v[128:129], v[68:69], -v[70:71]
	s_wait_loadcnt 0xa
	v_mul_f64_e32 v[70:71], v[122:123], v[78:79]
	ds_load_2addr_b64 v[36:39], v176 offset0:40 offset1:175
	ds_load_2addr_b64 v[62:65], v172 offset0:112 offset1:247
	v_mul_f64_e32 v[78:79], v[22:23], v[78:79]
	v_fma_f64 v[128:129], v[34:35], v[40:41], v[230:231]
	ds_load_2addr_b64 v[32:35], v173 offset0:54 offset1:189
	v_fma_f64 v[130:131], v[130:131], v[40:41], -v[42:43]
	ds_load_2addr_b64 v[40:43], v181 offset0:62 offset1:197
	v_fma_f64 v[28:29], v[28:29], v[44:45], v[50:51]
	v_fma_f64 v[50:51], v[132:133], v[44:45], -v[46:47]
	ds_load_2addr_b64 v[44:47], v220 offset0:68 offset1:203
	v_fma_f64 v[30:31], v[30:31], v[60:61], v[232:233]
	s_wait_loadcnt_dscnt 0x904
	v_mul_f64_e32 v[228:229], v[36:37], v[82:83]
	s_wait_loadcnt 0x8
	v_mul_f64_e32 v[132:133], v[38:39], v[90:91]
	v_fma_f64 v[60:61], v[134:135], v[60:61], -v[234:235]
	s_wait_loadcnt_dscnt 0x703
	v_mul_f64_e32 v[134:135], v[62:63], v[94:95]
	v_fma_f64 v[24:25], v[24:25], v[56:57], v[236:237]
	v_fma_f64 v[56:57], v[124:125], v[56:57], -v[58:59]
	s_wait_loadcnt_dscnt 0x402
	v_mul_f64_e32 v[58:59], v[32:33], v[98:99]
	v_mul_f64_e32 v[230:231], v[64:65], v[86:87]
	;; [unrolled: 1-line block ×4, first 2 shown]
	v_fma_f64 v[26:27], v[26:27], v[52:53], v[194:195]
	v_fma_f64 v[52:53], v[126:127], v[52:53], -v[54:55]
	s_wait_loadcnt_dscnt 0x301
	v_mul_f64_e32 v[54:55], v[40:41], v[106:107]
	v_fma_f64 v[20:21], v[20:21], v[72:73], v[224:225]
	v_fma_f64 v[72:73], v[120:121], v[72:73], -v[74:75]
	v_mul_f64_e32 v[94:95], v[12:13], v[94:95]
	s_wait_loadcnt 0x2
	v_mul_f64_e32 v[126:127], v[42:43], v[110:111]
	v_fma_f64 v[22:23], v[22:23], v[76:77], v[70:71]
	s_wait_loadcnt_dscnt 0x100
	v_mul_f64_e32 v[74:75], v[44:45], v[114:115]
	s_wait_loadcnt 0x0
	v_mul_f64_e32 v[70:71], v[46:47], v[118:119]
	v_mul_f64_e32 v[82:83], v[16:17], v[82:83]
	;; [unrolled: 1-line block ×9, first 2 shown]
	v_fma_f64 v[76:77], v[122:123], v[76:77], -v[78:79]
	ds_load_b64 v[78:79], v211
	ds_load_b64 v[120:121], v212
	;; [unrolled: 1-line block ×4, first 2 shown]
	v_fma_f64 v[16:17], v[16:17], v[80:81], v[228:229]
	v_fma_f64 v[18:19], v[18:19], v[88:89], v[132:133]
	;; [unrolled: 1-line block ×6, first 2 shown]
	v_fma_f64 v[38:39], v[38:39], v[88:89], -v[90:91]
	v_add_f64_e32 v[58:59], v[187:188], v[226:227]
	v_fma_f64 v[4:5], v[4:5], v[104:105], v[54:55]
	v_add_f64_e32 v[54:55], v[160:161], v[187:188]
	v_fma_f64 v[62:63], v[62:63], v[92:93], -v[94:95]
	v_fma_f64 v[6:7], v[6:7], v[108:109], v[126:127]
	v_add_f64_e32 v[94:95], v[66:67], v[130:131]
	v_fma_f64 v[0:1], v[0:1], v[112:113], v[74:75]
	v_fma_f64 v[2:3], v[2:3], v[116:117], v[70:71]
	v_fma_f64 v[36:37], v[36:37], v[80:81], -v[82:83]
	ds_load_b64 v[80:81], v214
	ds_load_b64 v[82:83], v213
	v_fma_f64 v[64:65], v[64:65], v[84:85], -v[86:87]
	v_fma_f64 v[32:33], v[32:33], v[96:97], -v[98:99]
	;; [unrolled: 1-line block ×7, first 2 shown]
	s_wait_dscnt 0x5
	v_add_f64_e32 v[70:71], v[78:79], v[48:49]
	v_add_f64_e32 v[74:75], v[48:49], v[68:69]
	;; [unrolled: 1-line block ×3, first 2 shown]
	ds_load_b64 v[88:89], v217
	ds_load_b64 v[90:91], v178
	;; [unrolled: 1-line block ×4, first 2 shown]
	v_add_f64_e32 v[96:97], v[152:153], v[28:29]
	v_add_f64_e32 v[98:99], v[28:29], v[24:25]
	s_wait_dscnt 0x6
	v_add_f64_e32 v[100:101], v[166:167], v[50:51]
	v_add_f64_e32 v[110:111], v[30:31], v[26:27]
	;; [unrolled: 1-line block ×6, first 2 shown]
	v_add_f64_e64 v[102:103], v[187:188], -v[226:227]
	s_wait_dscnt 0x5
	v_add_f64_e32 v[124:125], v[80:81], v[72:73]
	s_wait_dscnt 0x4
	v_add_f64_e32 v[112:113], v[82:83], v[60:61]
	v_add_f64_e32 v[187:188], v[12:13], v[8:9]
	;; [unrolled: 1-line block ×4, first 2 shown]
	v_add_f64_e64 v[108:109], v[222:223], -v[128:129]
	v_add_f64_e32 v[114:115], v[60:61], v[52:53]
	s_wait_dscnt 0x3
	v_add_f64_e32 v[221:222], v[88:89], v[76:77]
	v_add_f64_e32 v[223:224], v[76:77], v[38:39]
	;; [unrolled: 1-line block ×5, first 2 shown]
	v_add_f64_e64 v[48:49], v[48:49], -v[68:69]
	v_fma_f64 v[58:59], v[58:59], -0.5, v[160:161]
	v_add_f64_e32 v[242:243], v[4:5], v[0:1]
	v_add_f64_e32 v[225:226], v[6:7], v[2:3]
	;; [unrolled: 1-line block ×4, first 2 shown]
	s_wait_dscnt 0x2
	v_add_f64_e32 v[238:239], v[90:91], v[64:65]
	v_add_f64_e32 v[232:233], v[62:63], v[32:33]
	;; [unrolled: 1-line block ×3, first 2 shown]
	v_add_f64_e64 v[66:67], v[66:67], -v[130:131]
	v_add_f64_e64 v[28:29], v[28:29], -v[24:25]
	;; [unrolled: 1-line block ×3, first 2 shown]
	v_fma_f64 v[94:95], v[94:95], -0.5, v[122:123]
	v_add_f64_e32 v[68:69], v[70:71], v[68:69]
	v_add_f64_e32 v[70:71], v[40:41], v[44:45]
	v_fma_f64 v[74:75], v[74:75], -0.5, v[78:79]
	v_add_f64_e32 v[78:79], v[156:157], v[6:7]
	v_fma_f64 v[86:87], v[86:87], -0.5, v[154:155]
	v_add_f64_e32 v[154:155], v[42:43], v[46:47]
	v_add_f64_e32 v[24:25], v[96:97], v[24:25]
	v_fma_f64 v[96:97], v[98:99], -0.5, v[152:153]
	v_add_f64_e64 v[60:61], v[60:61], -v[52:53]
	v_add_f64_e32 v[56:57], v[100:101], v[56:57]
	v_fma_f64 v[100:101], v[110:111], -0.5, v[150:151]
	v_add_f64_e32 v[194:195], v[164:165], v[22:23]
	v_add_f64_e64 v[30:31], v[30:31], -v[26:27]
	v_add_f64_e64 v[72:73], v[72:73], -v[36:37]
	;; [unrolled: 1-line block ×3, first 2 shown]
	v_fma_f64 v[98:99], v[104:105], -0.5, v[166:167]
	v_add_f64_e32 v[26:27], v[106:107], v[26:27]
	v_fma_f64 v[104:105], v[118:119], -0.5, v[141:142]
	v_fma_f64 v[106:107], v[134:135], -0.5, v[164:165]
	v_add_f64_e32 v[228:229], v[139:140], v[12:13]
	v_add_f64_e64 v[62:63], v[62:63], -v[32:33]
	v_add_f64_e32 v[110:111], v[124:125], v[36:37]
	v_fma_f64 v[36:37], v[187:188], -0.5, v[139:140]
	v_add_f64_e32 v[234:235], v[162:163], v[14:15]
	v_add_f64_e64 v[64:65], v[64:65], -v[34:35]
	v_add_f64_e32 v[52:53], v[112:113], v[52:53]
	v_fma_f64 v[112:113], v[236:237], -0.5, v[162:163]
	v_add_f64_e32 v[244:245], v[158:159], v[4:5]
	s_wait_dscnt 0x1
	v_add_f64_e32 v[160:161], v[132:133], v[40:41]
	v_add_f64_e64 v[40:41], v[40:41], -v[44:45]
	v_fma_f64 v[82:83], v[114:115], -0.5, v[82:83]
	v_add_f64_e32 v[114:115], v[221:222], v[38:39]
	v_fma_f64 v[38:39], v[223:224], -0.5, v[88:89]
	v_fma_f64 v[88:89], v[242:243], -0.5, v[158:159]
	v_add_f64_e64 v[20:21], v[20:21], -v[16:17]
	v_add_f64_e32 v[84:85], v[84:85], v[128:129]
	s_wait_dscnt 0x0
	v_add_f64_e32 v[128:129], v[168:169], v[42:43]
	v_add_f64_e64 v[42:43], v[42:43], -v[46:47]
	v_add_f64_e32 v[16:17], v[116:117], v[16:17]
	v_add_f64_e32 v[116:117], v[230:231], v[32:33]
	v_fma_f64 v[32:33], v[225:226], -0.5, v[156:157]
	v_add_f64_e64 v[22:23], v[22:23], -v[18:19]
	v_add_f64_e64 v[12:13], v[12:13], -v[8:9]
	v_add_f64_e64 v[14:15], v[14:15], -v[10:11]
	v_add_f64_e64 v[4:5], v[4:5], -v[0:1]
	v_add_f64_e64 v[6:7], v[6:7], -v[2:3]
	v_fma_f64 v[80:81], v[126:127], -0.5, v[80:81]
	v_fma_f64 v[118:119], v[232:233], -0.5, v[120:121]
	v_add_f64_e32 v[120:121], v[238:239], v[34:35]
	v_fma_f64 v[34:35], v[240:241], -0.5, v[90:91]
	v_fma_f64 v[70:71], v[70:71], -0.5, v[132:133]
	v_add_f64_e32 v[2:3], v[78:79], v[2:3]
	v_fma_f64 v[78:79], v[154:155], -0.5, v[168:169]
	v_fma_f64 v[90:91], v[48:49], s[2:3], v[58:59]
	v_fma_f64 v[48:49], v[48:49], s[6:7], v[58:59]
	;; [unrolled: 1-line block ×12, first 2 shown]
	v_add_f64_e32 v[18:19], v[194:195], v[18:19]
	v_fma_f64 v[100:101], v[72:73], s[2:3], v[104:105]
	v_fma_f64 v[72:73], v[72:73], s[6:7], v[104:105]
	;; [unrolled: 1-line block ×4, first 2 shown]
	v_add_f64_e32 v[8:9], v[228:229], v[8:9]
	v_fma_f64 v[96:97], v[28:29], s[6:7], v[98:99]
	v_fma_f64 v[98:99], v[28:29], s[2:3], v[98:99]
	;; [unrolled: 1-line block ×4, first 2 shown]
	v_add_f64_e32 v[10:11], v[234:235], v[10:11]
	v_fma_f64 v[106:107], v[64:65], s[2:3], v[112:113]
	v_fma_f64 v[64:65], v[64:65], s[6:7], v[112:113]
	v_add_f64_e32 v[0:1], v[244:245], v[0:1]
	v_fma_f64 v[62:63], v[30:31], s[6:7], v[82:83]
	v_fma_f64 v[82:83], v[30:31], s[2:3], v[82:83]
	;; [unrolled: 1-line block ×6, first 2 shown]
	global_wb scope:SCOPE_SE
	s_barrier_signal -1
	s_barrier_wait -1
	global_inv scope:SCOPE_SE
	v_add_f64_e32 v[92:93], v[92:93], v[130:131]
	v_add_f64_e32 v[44:45], v[160:161], v[44:45]
	;; [unrolled: 1-line block ×3, first 2 shown]
	v_fma_f64 v[88:89], v[20:21], s[6:7], v[80:81]
	v_fma_f64 v[42:43], v[20:21], s[2:3], v[80:81]
	;; [unrolled: 1-line block ×12, first 2 shown]
	ds_store_b64 v211, v[54:55]
	ds_store_b64 v211, v[90:91] offset:3600
	ds_store_b64 v211, v[48:49] offset:7200
	ds_store_b64 v218, v[84:85]
	ds_store_b64 v218, v[102:103] offset:3600
	ds_store_b64 v218, v[66:67] offset:7200
	;; [unrolled: 3-line block ×4, first 2 shown]
	ds_store_2addr_b64 v246, v[16:17], v[18:19] offset0:32 offset1:167
	ds_store_2addr_b64 v247, v[100:101], v[104:105] offset0:98 offset1:233
	ds_store_2addr_b64 v248, v[72:73], v[76:77] offset0:36 offset1:171
	ds_store_b64 v249, v[8:9]
	ds_store_b64 v249, v[28:29] offset:3600
	ds_store_b64 v249, v[36:37] offset:7200
	;; [unrolled: 1-line block ×11, first 2 shown]
	global_wb scope:SCOPE_SE
	s_wait_dscnt 0x0
	s_barrier_signal -1
	s_barrier_wait -1
	global_inv scope:SCOPE_SE
	ds_load_b64 v[156:157], v211
	ds_load_2addr_b64 v[36:39], v170 offset0:70 offset1:205
	ds_load_2addr_b64 v[28:31], v171 offset0:12 offset1:147
	ds_load_b64 v[164:165], v218
	ds_load_b64 v[168:169], v219
	ds_load_2addr_b64 v[0:3], v175 offset0:84 offset1:219
	ds_load_2addr_b64 v[4:7], v174 offset0:26 offset1:161
	;; [unrolled: 1-line block ×4, first 2 shown]
	ds_load_b64 v[152:153], v214
	ds_load_b64 v[158:159], v213
	;; [unrolled: 1-line block ×3, first 2 shown]
	ds_load_2addr_b64 v[20:23], v172 offset0:112 offset1:247
	ds_load_2addr_b64 v[16:19], v173 offset0:54 offset1:189
	;; [unrolled: 1-line block ×3, first 2 shown]
	ds_load_b64 v[162:163], v217
	ds_load_b64 v[154:155], v178
	;; [unrolled: 1-line block ×4, first 2 shown]
	ds_load_2addr_b64 v[24:27], v220 offset0:68 offset1:203
	global_wb scope:SCOPE_SE
	s_wait_dscnt 0x0
	s_barrier_signal -1
	s_barrier_wait -1
	global_inv scope:SCOPE_SE
	ds_store_b64 v211, v[68:69]
	ds_store_b64 v211, v[58:59] offset:3600
	ds_store_b64 v211, v[74:75] offset:7200
	ds_store_b64 v218, v[92:93]
	ds_store_b64 v218, v[86:87] offset:3600
	ds_store_b64 v218, v[94:95] offset:7200
	;; [unrolled: 3-line block ×4, first 2 shown]
	ds_store_2addr_b64 v246, v[110:111], v[114:115] offset0:32 offset1:167
	ds_store_2addr_b64 v247, v[88:89], v[80:81] offset0:98 offset1:233
	ds_store_2addr_b64 v248, v[42:43], v[124:125] offset0:36 offset1:171
	ds_store_b64 v249, v[116:117]
	ds_store_b64 v249, v[126:127] offset:3600
	ds_store_b64 v249, v[118:119] offset:7200
	;; [unrolled: 1-line block ×11, first 2 shown]
	global_wb scope:SCOPE_SE
	s_wait_dscnt 0x0
	s_barrier_signal -1
	s_barrier_wait -1
	global_inv scope:SCOPE_SE
	s_and_saveexec_b32 s0, vcc_lo
	s_cbranch_execz .LBB0_15
; %bb.14:
	s_clause 0x3
	global_load_b128 v[140:143], v[144:145], off offset:21440
	global_load_b128 v[120:123], v[137:138], off offset:21440
	;; [unrolled: 1-line block ×4, first 2 shown]
	v_lshlrev_b32_e32 v135, 1, v210
	v_add_nc_u32_e32 v245, 0xd2f, v185
	v_mul_i32_i24_e32 v187, 0xffffffb8, v203
	v_mul_i32_i24_e32 v188, 0xffffffb8, v202
	v_mad_co_u64_u32 v[224:225], null, s8, v255, 0
	v_lshlrev_b64_e32 v[40:41], 4, v[135:136]
	v_lshlrev_b32_e32 v135, 1, v209
	v_mad_co_u64_u32 v[230:231], null, s8, v245, 0
	v_add_nc_u32_e32 v249, v215, v187
	v_mad_co_u64_u32 v[218:219], null, s8, v196, 0
	v_add_co_u32 v40, vcc_lo, s4, v40
	s_wait_alu 0xfffd
	v_add_co_ci_u32_e32 v41, vcc_lo, s5, v41, vcc_lo
	v_lshlrev_b64_e32 v[42:43], 4, v[135:136]
	v_lshlrev_b32_e32 v135, 1, v208
	v_add_nc_u32_e32 v248, v216, v188
	global_load_b128 v[104:107], v[40:41], off offset:21440
	v_mad_co_u64_u32 v[209:210], null, s8, v192, 0
	v_add_co_u32 v42, vcc_lo, s4, v42
	s_wait_alu 0xfffd
	v_add_co_ci_u32_e32 v43, vcc_lo, s5, v43, vcc_lo
	s_clause 0x3
	global_load_b128 v[96:99], v[42:43], off offset:21440
	global_load_b128 v[92:95], v[146:147], off offset:21440
	;; [unrolled: 1-line block ×4, first 2 shown]
	v_lshlrev_b64_e32 v[40:41], 4, v[135:136]
	global_load_b128 v[72:75], v[42:43], off offset:21456
	v_lshlrev_b32_e32 v135, 1, v207
	v_mad_co_u64_u32 v[207:208], null, s8, v199, 0
	v_mad_co_u64_u32 v[146:147], null, s8, v200, 0
	v_add_co_u32 v40, vcc_lo, s4, v40
	s_wait_alu 0xfffd
	v_add_co_ci_u32_e32 v41, vcc_lo, s5, v41, vcc_lo
	v_lshlrev_b64_e32 v[42:43], 4, v[135:136]
	v_lshlrev_b32_e32 v135, 1, v206
	v_mad_co_u64_u32 v[144:145], null, s8, v185, 0
	s_clause 0x1
	global_load_b128 v[76:79], v[40:41], off offset:21440
	global_load_b128 v[80:83], v[40:41], off offset:21456
	v_lshlrev_b64_e32 v[40:41], 4, v[135:136]
	v_lshlrev_b32_e32 v135, 1, v205
	v_add_co_u32 v42, vcc_lo, s4, v42
	s_wait_alu 0xfffd
	v_add_co_ci_u32_e32 v43, vcc_lo, s5, v43, vcc_lo
	s_delay_alu instid0(VALU_DEP_3)
	v_lshlrev_b64_e32 v[44:45], 4, v[135:136]
	v_lshlrev_b32_e32 v135, 1, v204
	v_add_co_u32 v40, vcc_lo, s4, v40
	s_wait_alu 0xfffd
	v_add_co_ci_u32_e32 v41, vcc_lo, s5, v41, vcc_lo
	s_clause 0x1
	global_load_b128 v[68:71], v[42:43], off offset:21440
	global_load_b128 v[52:55], v[42:43], off offset:21456
	v_lshlrev_b64_e32 v[42:43], 4, v[135:136]
	s_clause 0x1
	global_load_b128 v[48:51], v[40:41], off offset:21456
	global_load_b128 v[56:59], v[40:41], off offset:21440
	v_add_co_u32 v40, vcc_lo, s4, v44
	s_wait_alu 0xfffd
	v_add_co_ci_u32_e32 v41, vcc_lo, s5, v45, vcc_lo
	v_add_co_u32 v60, vcc_lo, s4, v42
	s_wait_alu 0xfffd
	v_add_co_ci_u32_e32 v61, vcc_lo, s5, v43, vcc_lo
	s_clause 0x3
	global_load_b128 v[44:47], v[40:41], off offset:21440
	global_load_b128 v[40:43], v[40:41], off offset:21456
	;; [unrolled: 1-line block ×4, first 2 shown]
	ds_load_2addr_b64 v[136:139], v170 offset0:70 offset1:205
	ds_load_2addr_b64 v[132:135], v171 offset0:12 offset1:147
	v_mad_co_u64_u32 v[203:204], null, s8, v191, 0
	v_add_nc_u32_e32 v236, 0x654, v185
	ds_load_2addr_b64 v[128:131], v181 offset0:62 offset1:197
	ds_load_2addr_b64 v[124:127], v220 offset0:68 offset1:203
	;; [unrolled: 1-line block ×4, first 2 shown]
	v_add_co_u32 v181, vcc_lo, s10, v148
	s_wait_alu 0xfffd
	v_add_co_ci_u32_e32 v202, vcc_lo, s11, v149, vcc_lo
	v_mov_b32_e32 v187, v204
	v_mad_co_u64_u32 v[148:149], null, s8, v193, 0
	v_mad_co_u64_u32 v[205:206], null, s8, v236, 0
	;; [unrolled: 1-line block ×4, first 2 shown]
	s_delay_alu instid0(VALU_DEP_4) | instskip(NEXT) | instid1(VALU_DEP_4)
	v_mad_co_u64_u32 v[232:233], null, s9, v193, v[149:150]
	v_mov_b32_e32 v188, v206
	v_dual_mov_b32 v195, v210 :: v_dual_add_nc_u32 v244, 0x7e9, v185
	v_mad_co_u64_u32 v[233:234], null, s9, v198, v[173:174]
	v_mov_b32_e32 v173, v225
	s_delay_alu instid0(VALU_DEP_4) | instskip(SKIP_1) | instid1(VALU_DEP_3)
	v_mad_co_u64_u32 v[234:235], null, s9, v191, v[187:188]
	v_mad_co_u64_u32 v[187:188], null, s9, v236, v[188:189]
	;; [unrolled: 1-line block ×3, first 2 shown]
	v_mov_b32_e32 v194, v208
	v_mad_co_u64_u32 v[215:216], null, s9, v200, v[147:148]
	v_dual_mov_b32 v147, v219 :: v_dual_mov_b32 v204, v234
	s_delay_alu instid0(VALU_DEP_3)
	v_mad_co_u64_u32 v[193:194], null, s9, v199, v[194:195]
	v_mov_b32_e32 v225, v235
	v_mul_hi_u32 v243, 0xc22e4507, v186
	v_mad_co_u64_u32 v[191:192], null, s9, v192, v[195:196]
	v_mad_co_u64_u32 v[194:195], null, s9, v196, v[147:148]
	;; [unrolled: 1-line block ×5, first 2 shown]
	v_mov_b32_e32 v147, v227
	v_mad_co_u64_u32 v[222:223], null, s8, v197, 0
	v_mad_co_u64_u32 v[228:229], null, s8, v244, 0
	s_delay_alu instid0(VALU_DEP_3)
	v_mad_co_u64_u32 v[236:237], null, s9, v189, v[147:148]
	ds_load_b64 v[237:238], v180
	ds_load_b64 v[239:240], v179
	;; [unrolled: 1-line block ×4, first 2 shown]
	v_lshrrev_b32_e32 v179, 10, v243
	v_mov_b32_e32 v145, v195
	v_mad_co_u64_u32 v[200:201], null, s9, v201, v[171:172]
	v_dual_mov_b32 v149, v221 :: v_dual_add_nc_u32 v192, 0xc21, v185
	v_mov_b32_e32 v147, v215
	v_mad_u32_u24 v215, 0xa8c, v179, v186
	v_mov_b32_e32 v171, v223
	v_lshlrev_b64_e32 v[144:145], 4, v[144:145]
	v_mad_co_u64_u32 v[198:199], null, s9, v190, v[149:150]
	v_mov_b32_e32 v149, v232
	v_mov_b32_e32 v173, v229
	v_add_nc_u32_e32 v189, 0xa8c, v185
	v_lshlrev_b64_e32 v[146:147], 4, v[146:147]
	v_dual_mov_b32 v227, v236 :: v_dual_add_nc_u32 v236, 0x546, v215
	v_mad_co_u64_u32 v[196:197], null, s9, v197, v[171:172]
	v_mov_b32_e32 v171, v200
	v_lshlrev_b64_e32 v[148:149], 4, v[148:149]
	v_add_co_u32 v144, vcc_lo, v181, v144
	v_mov_b32_e32 v178, v231
	v_mad_co_u64_u32 v[231:232], null, s9, v244, v[173:174]
	v_mov_b32_e32 v173, v233
	v_mul_hi_u32 v188, 0xc22e4507, v184
	v_mad_co_u64_u32 v[232:233], null, s8, v189, 0
	s_wait_alu 0xfffd
	v_add_co_ci_u32_e32 v145, vcc_lo, v202, v145, vcc_lo
	v_lshlrev_b64_e32 v[170:171], 4, v[170:171]
	v_add_co_u32 v146, vcc_lo, v181, v146
	s_wait_alu 0xfffd
	v_add_co_ci_u32_e32 v147, vcc_lo, v202, v147, vcc_lo
	v_lshlrev_b64_e32 v[172:173], 4, v[172:173]
	v_add_co_u32 v148, vcc_lo, v181, v148
	;; [unrolled: 4-line block ×3, first 2 shown]
	v_lshrrev_b32_e32 v185, 10, v188
	v_mov_b32_e32 v188, v233
	s_wait_alu 0xfffd
	v_add_co_ci_u32_e32 v171, vcc_lo, v202, v171, vcc_lo
	v_mad_co_u64_u32 v[243:244], null, s9, v245, v[178:179]
	ds_load_2addr_b64 v[177:180], v177 offset0:98 offset1:233
	v_add_co_u32 v172, vcc_lo, v181, v172
	s_wait_alu 0xfffd
	v_add_co_ci_u32_e32 v173, vcc_lo, v202, v173, vcc_lo
	v_mov_b32_e32 v221, v198
	v_mad_co_u64_u32 v[197:198], null, s9, v189, v[188:189]
	v_mad_co_u64_u32 v[244:245], null, s8, v192, 0
	v_dual_mov_b32 v206, v187 :: v_dual_mov_b32 v223, v196
	v_mov_b32_e32 v210, v191
	ds_load_2addr_b64 v[188:191], v175 offset0:84 offset1:219
	v_mov_b32_e32 v233, v197
	v_mad_co_u64_u32 v[196:197], null, s8, v215, 0
	v_mov_b32_e32 v208, v193
	v_mad_u32_u24 v250, 0xa8c, v185, v184
	ds_load_2addr_b64 v[184:187], v176 offset0:40 offset1:175
	v_mov_b32_e32 v176, v245
	v_lshlrev_b64_e32 v[205:206], 4, v[205:206]
	v_lshlrev_b64_e32 v[207:208], 4, v[207:208]
	v_mov_b32_e32 v219, v194
	v_mov_b32_e32 v229, v231
	;; [unrolled: 1-line block ×3, first 2 shown]
	s_wait_dscnt 0x2
	v_mad_co_u64_u32 v[175:176], null, s9, v192, v[176:177]
	ds_load_2addr_b64 v[192:195], v174 offset0:26 offset1:161
	v_lshlrev_b64_e32 v[209:210], 4, v[209:210]
	v_lshlrev_b64_e32 v[218:219], 4, v[218:219]
	;; [unrolled: 1-line block ×5, first 2 shown]
	v_mov_b32_e32 v245, v175
	v_mad_co_u64_u32 v[174:175], null, s8, v236, 0
	s_wait_loadcnt 0x13
	v_mul_f64_e32 v[199:200], v[38:39], v[142:143]
	s_wait_loadcnt 0x12
	v_mul_f64_e32 v[246:247], v[36:37], v[122:123]
	v_mul_f64_e32 v[122:123], v[136:137], v[122:123]
	s_wait_loadcnt 0x11
	v_mul_f64_e32 v[234:235], v[30:31], v[118:119]
	v_mul_f64_e32 v[118:119], v[134:135], v[118:119]
	;; [unrolled: 1-line block ×3, first 2 shown]
	v_fma_f64 v[138:139], v[140:141], v[138:139], -v[199:200]
	v_fma_f64 v[136:137], v[120:121], v[136:137], -v[246:247]
	v_fma_f64 v[36:37], v[36:37], v[120:121], v[122:123]
	s_wait_loadcnt 0x10
	v_mul_f64_e32 v[121:122], v[28:29], v[102:103]
	v_mul_f64_e32 v[102:103], v[132:133], v[102:103]
	s_wait_loadcnt 0xf
	v_mul_f64_e32 v[246:247], v[34:35], v[106:107]
	v_mul_f64_e32 v[106:107], v[130:131], v[106:107]
	v_fma_f64 v[134:135], v[116:117], v[134:135], -v[234:235]
	v_fma_f64 v[30:31], v[30:31], v[116:117], v[118:119]
	v_add_co_u32 v116, vcc_lo, v181, v203
	s_wait_alu 0xfffd
	v_add_co_ci_u32_e32 v117, vcc_lo, v202, v204, vcc_lo
	s_wait_loadcnt 0xe
	v_mul_f64_e32 v[203:204], v[32:33], v[98:99]
	v_mul_f64_e32 v[98:99], v[128:129], v[98:99]
	v_mov_b32_e32 v120, v197
	v_add_co_u32 v118, vcc_lo, v181, v205
	s_wait_alu 0xfffd
	v_add_co_ci_u32_e32 v119, vcc_lo, v202, v206, vcc_lo
	v_lshlrev_b64_e32 v[205:206], 4, v[226:227]
	v_lshlrev_b64_e32 v[226:227], 4, v[228:229]
	;; [unrolled: 1-line block ×3, first 2 shown]
	v_fma_f64 v[38:39], v[38:39], v[140:141], v[142:143]
	ds_load_b64 v[140:141], v214
	ds_load_b64 v[142:143], v213
	;; [unrolled: 1-line block ×6, first 2 shown]
	v_add_nc_u32_e32 v248, 0xa8c, v215
	v_mad_co_u64_u32 v[230:231], null, s9, v215, v[120:121]
	v_fma_f64 v[120:121], v[100:101], v[132:133], -v[121:122]
	v_add_co_u32 v122, vcc_lo, v181, v207
	s_wait_alu 0xfffd
	v_add_co_ci_u32_e32 v123, vcc_lo, v202, v208, vcc_lo
	v_add_co_u32 v132, vcc_lo, v181, v209
	s_wait_alu 0xfffd
	v_add_co_ci_u32_e32 v133, vcc_lo, v202, v210, vcc_lo
	;; [unrolled: 3-line block ×3, first 2 shown]
	s_wait_loadcnt 0xd
	v_mul_f64_e32 v[218:219], v[0:1], v[94:95]
	v_fma_f64 v[28:29], v[28:29], v[100:101], v[102:103]
	s_wait_dscnt 0x8
	v_mul_f64_e32 v[94:95], v[188:189], v[94:95]
	s_wait_loadcnt 0xc
	v_mul_f64_e32 v[100:101], v[4:5], v[90:91]
	v_fma_f64 v[130:131], v[104:105], v[130:131], -v[246:247]
	v_fma_f64 v[34:35], v[34:35], v[104:105], v[106:107]
	s_wait_loadcnt 0xa
	v_mul_f64_e32 v[104:105], v[24:25], v[74:75]
	s_wait_dscnt 0x6
	v_mul_f64_e32 v[90:91], v[192:193], v[90:91]
	v_mul_f64_e32 v[102:103], v[26:27], v[86:87]
	;; [unrolled: 1-line block ×4, first 2 shown]
	v_fma_f64 v[106:107], v[96:97], v[128:129], -v[203:204]
	v_fma_f64 v[32:33], v[32:33], v[96:97], v[98:99]
	s_wait_loadcnt 0x8
	v_mul_f64_e32 v[96:97], v[18:19], v[82:83]
	v_mul_f64_e32 v[82:83], v[110:111], v[82:83]
	;; [unrolled: 1-line block ×4, first 2 shown]
	v_add_co_u32 v209, vcc_lo, v181, v220
	s_wait_alu 0xfffd
	v_add_co_ci_u32_e32 v210, vcc_lo, v202, v221, vcc_lo
	v_add_co_u32 v220, vcc_lo, v181, v222
	s_wait_alu 0xfffd
	v_add_co_ci_u32_e32 v221, vcc_lo, v202, v223, vcc_lo
	v_mov_b32_e32 v98, v175
	v_add_co_u32 v128, vcc_lo, v181, v224
	s_wait_alu 0xfffd
	v_add_co_ci_u32_e32 v129, vcc_lo, v202, v225, vcc_lo
	v_add_co_u32 v205, vcc_lo, v181, v205
	s_wait_alu 0xfffd
	v_add_co_ci_u32_e32 v206, vcc_lo, v202, v206, vcc_lo
	v_add_co_u32 v222, vcc_lo, v181, v226
	v_lshlrev_b64_e32 v[175:176], 4, v[232:233]
	s_wait_alu 0xfffd
	v_add_co_ci_u32_e32 v223, vcc_lo, v202, v227, vcc_lo
	v_fma_f64 v[188:189], v[92:93], v[188:189], -v[218:219]
	v_fma_f64 v[0:1], v[0:1], v[92:93], v[94:95]
	v_fma_f64 v[94:95], v[88:89], v[192:193], -v[100:101]
	s_wait_loadcnt 0x7
	v_mul_f64_e32 v[92:93], v[20:21], v[70:71]
	v_mul_f64_e32 v[70:71], v[112:113], v[70:71]
	v_fma_f64 v[99:100], v[72:73], v[124:125], -v[104:105]
	v_fma_f64 v[4:5], v[4:5], v[88:89], v[90:91]
	s_wait_loadcnt 0x6
	v_mul_f64_e32 v[88:89], v[16:17], v[54:55]
	v_mul_f64_e32 v[54:55], v[108:109], v[54:55]
	v_fma_f64 v[90:91], v[84:85], v[126:127], -v[102:103]
	v_fma_f64 v[26:27], v[26:27], v[84:85], v[86:87]
	s_wait_loadcnt 0x4
	v_mul_f64_e32 v[84:85], v[10:11], v[58:59]
	v_mul_f64_e32 v[86:87], v[14:15], v[50:51]
	;; [unrolled: 1-line block ×4, first 2 shown]
	v_fma_f64 v[101:102], v[24:25], v[72:73], v[74:75]
	s_wait_loadcnt 0x3
	v_mul_f64_e32 v[24:25], v[8:9], v[46:47]
	s_wait_loadcnt 0x2
	v_mul_f64_e32 v[72:73], v[12:13], v[42:43]
	;; [unrolled: 2-line block ×4, first 2 shown]
	v_mul_f64_e32 v[66:67], v[190:191], v[66:67]
	v_mul_f64_e32 v[62:63], v[194:195], v[62:63]
	v_fma_f64 v[96:97], v[80:81], v[110:111], -v[96:97]
	v_fma_f64 v[110:111], v[18:19], v[80:81], v[82:83]
	v_mul_f64_e32 v[18:19], v[177:178], v[46:47]
	v_mul_f64_e32 v[42:43], v[184:185], v[42:43]
	v_add_co_u32 v224, vcc_lo, v181, v228
	s_wait_alu 0xfffd
	v_add_co_ci_u32_e32 v225, vcc_lo, v202, v229, vcc_lo
	v_add_co_u32 v126, vcc_lo, v181, v175
	v_fma_f64 v[22:23], v[22:23], v[76:77], v[78:79]
	v_mov_b32_e32 v197, v230
	v_fma_f64 v[114:115], v[76:77], v[114:115], -v[203:204]
	v_lshlrev_b64_e32 v[76:77], 4, v[244:245]
	s_wait_alu 0xfffd
	v_add_co_ci_u32_e32 v127, vcc_lo, v202, v176, vcc_lo
	v_lshlrev_b64_e32 v[78:79], 4, v[196:197]
	v_add_f64_e64 v[80:81], v[136:137], -v[120:121]
	v_mad_co_u64_u32 v[124:125], null, s8, v248, 0
	v_fma_f64 v[20:21], v[20:21], v[68:69], v[70:71]
	v_mad_co_u64_u32 v[46:47], null, s9, v236, v[98:99]
	v_add_co_u32 v192, vcc_lo, v181, v76
	v_fma_f64 v[16:17], v[16:17], v[52:53], v[54:55]
	s_wait_alu 0xfffd
	v_add_co_ci_u32_e32 v193, vcc_lo, v202, v77, vcc_lo
	v_fma_f64 v[54:55], v[48:49], v[186:187], -v[86:87]
	v_mov_b32_e32 v175, v46
	v_fma_f64 v[46:47], v[68:69], v[112:113], -v[92:93]
	v_fma_f64 v[68:69], v[52:53], v[108:109], -v[88:89]
	;; [unrolled: 1-line block ×3, first 2 shown]
	v_fma_f64 v[10:11], v[10:11], v[56:57], v[58:59]
	v_fma_f64 v[48:49], v[14:15], v[48:49], v[50:51]
	v_fma_f64 v[24:25], v[44:45], v[177:178], -v[24:25]
	v_fma_f64 v[56:57], v[40:41], v[184:185], -v[72:73]
	;; [unrolled: 1-line block ×4, first 2 shown]
	v_fma_f64 v[64:65], v[2:3], v[64:65], v[66:67]
	v_fma_f64 v[60:61], v[6:7], v[60:61], v[62:63]
	;; [unrolled: 1-line block ×4, first 2 shown]
	v_add_co_u32 v196, vcc_lo, v181, v78
	s_wait_alu 0xfffd
	v_add_co_ci_u32_e32 v197, vcc_lo, v202, v79, vcc_lo
	v_add_f64_e32 v[72:73], v[136:137], v[120:121]
	s_wait_dscnt 0x2
	v_add_f64_e32 v[76:77], v[200:201], v[136:137]
	v_add_f64_e32 v[78:79], v[36:37], v[28:29]
	s_wait_dscnt 0x1
	v_add_f64_e32 v[2:3], v[211:212], v[188:189]
	v_add_f64_e32 v[6:7], v[0:1], v[4:5]
	;; [unrolled: 1-line block ×5, first 2 shown]
	v_add_f64_e64 v[40:41], v[188:189], -v[94:95]
	s_wait_dscnt 0x0
	v_add_f64_e32 v[12:13], v[213:214], v[138:139]
	v_add_f64_e32 v[82:83], v[130:131], v[90:91]
	;; [unrolled: 1-line block ×3, first 2 shown]
	v_add_f64_e64 v[70:71], v[138:139], -v[134:135]
	v_add_f64_e64 v[74:75], v[36:37], -v[28:29]
	v_add_f64_e32 v[36:37], v[156:157], v[36:37]
	v_add_f64_e32 v[86:87], v[34:35], v[26:27]
	v_add_f64_e64 v[92:93], v[130:131], -v[90:91]
	v_add_f64_e32 v[103:104], v[106:107], v[99:100]
	v_add_f64_e32 v[112:113], v[239:240], v[106:107]
	v_add_f64_e32 v[130:131], v[32:33], v[101:102]
	v_add_f64_e64 v[138:139], v[22:23], -v[110:111]
	v_add_f64_e32 v[190:191], v[22:23], v[110:111]
	v_add_f64_e32 v[203:204], v[154:155], v[22:23]
	v_add_f64_e32 v[176:177], v[52:53], v[54:55]
	v_add_f64_e32 v[22:23], v[46:47], v[68:69]
	v_add_f64_e32 v[218:219], v[10:11], v[48:49]
	v_add_f64_e32 v[230:231], v[20:21], v[16:17]
	v_add_f64_e32 v[178:179], v[24:25], v[56:57]
	v_add_f64_e64 v[234:235], v[10:11], -v[48:49]
	v_add_f64_e32 v[184:185], v[50:51], v[58:59]
	v_add_f64_e32 v[243:244], v[162:163], v[10:11]
	;; [unrolled: 1-line block ×3, first 2 shown]
	v_add_f64_e64 v[88:89], v[34:35], -v[26:27]
	v_add_f64_e32 v[194:195], v[18:19], v[66:67]
	v_add_f64_e32 v[34:35], v[166:167], v[34:35]
	v_add_f64_e64 v[108:109], v[32:33], -v[101:102]
	v_add_f64_e32 v[136:137], v[160:161], v[32:33]
	v_add_f64_e32 v[32:33], v[114:115], v[96:97]
	v_fma_f64 v[72:73], v[72:73], -0.5, v[200:201]
	v_add_f64_e32 v[10:11], v[76:77], v[120:121]
	v_fma_f64 v[76:77], v[78:79], -0.5, v[156:157]
	v_add_f64_e32 v[228:229], v[198:199], v[46:47]
	v_add_f64_e64 v[232:233], v[46:47], -v[68:69]
	v_add_f64_e32 v[46:47], v[216:217], v[52:53]
	v_add_f64_e32 v[2:3], v[2:3], v[94:95]
	v_fma_f64 v[94:95], v[6:7], -0.5, v[168:169]
	v_fma_f64 v[44:45], v[44:45], -0.5, v[164:165]
	v_add_f64_e64 v[62:63], v[0:1], -v[4:5]
	v_add_f64_e32 v[0:1], v[168:169], v[0:1]
	v_add_f64_e64 v[42:43], v[38:39], -v[30:31]
	v_add_f64_e32 v[38:39], v[164:165], v[38:39]
	v_fma_f64 v[168:169], v[8:9], -0.5, v[213:214]
	v_add_f64_e64 v[245:246], v[52:53], -v[54:55]
	v_fma_f64 v[52:53], v[14:15], -0.5, v[211:212]
	v_add_f64_e32 v[120:121], v[140:141], v[24:25]
	v_add_f64_e64 v[156:157], v[64:65], -v[60:61]
	v_add_f64_e32 v[164:165], v[142:143], v[50:51]
	v_add_f64_e32 v[64:65], v[158:159], v[64:65]
	v_add_f64_e32 v[6:7], v[12:13], v[134:135]
	v_add_f64_e32 v[134:135], v[152:153], v[18:19]
	v_add_f64_e64 v[78:79], v[18:19], -v[66:67]
	v_fma_f64 v[176:177], v[176:177], -0.5, v[216:217]
	v_add_f64_e32 v[14:15], v[84:85], v[90:91]
	v_fma_f64 v[84:85], v[218:219], -0.5, v[162:163]
	v_add_f64_e64 v[226:227], v[20:21], -v[16:17]
	v_fma_f64 v[140:141], v[178:179], -0.5, v[140:141]
	v_add_f64_e64 v[178:179], v[50:51], -v[58:59]
	;; [unrolled: 2-line block ×3, first 2 shown]
	v_fma_f64 v[158:159], v[188:189], -0.5, v[158:159]
	v_fma_f64 v[188:189], v[82:83], -0.5, v[237:238]
	;; [unrolled: 1-line block ×3, first 2 shown]
	v_add_f64_e32 v[20:21], v[150:151], v[20:21]
	v_add_f64_e64 v[105:106], v[106:107], -v[99:100]
	v_add_f64_e32 v[186:187], v[241:242], v[114:115]
	v_add_f64_e64 v[114:115], v[114:115], -v[96:97]
	v_add_f64_e32 v[8:9], v[36:37], v[28:29]
	v_fma_f64 v[152:153], v[86:87], -0.5, v[166:167]
	v_fma_f64 v[103:104], v[103:104], -0.5, v[239:240]
	v_add_f64_e32 v[18:19], v[112:113], v[99:100]
	v_fma_f64 v[112:113], v[130:131], -0.5, v[160:161]
	v_fma_f64 v[154:155], v[190:191], -0.5, v[154:155]
	;; [unrolled: 1-line block ×4, first 2 shown]
	v_add_f64_e32 v[24:25], v[243:244], v[48:49]
	v_fma_f64 v[50:51], v[74:75], s[6:7], v[72:73]
	v_fma_f64 v[48:49], v[80:81], s[2:3], v[76:77]
	v_add_f64_e32 v[12:13], v[34:35], v[26:27]
	v_fma_f64 v[130:131], v[32:33], -0.5, v[241:242]
	v_add_f64_e32 v[26:27], v[46:47], v[54:55]
	v_fma_f64 v[28:29], v[40:41], s[6:7], v[94:95]
	v_fma_f64 v[32:33], v[40:41], s[2:3], v[94:95]
	v_fma_f64 v[36:37], v[70:71], s[6:7], v[44:45]
	v_fma_f64 v[40:41], v[70:71], s[2:3], v[44:45]
	v_fma_f64 v[46:47], v[74:75], s[2:3], v[72:73]
	v_fma_f64 v[44:45], v[80:81], s[6:7], v[76:77]
	v_add_f64_e32 v[0:1], v[0:1], v[4:5]
	v_add_f64_e32 v[4:5], v[38:39], v[30:31]
	v_fma_f64 v[38:39], v[42:43], s[2:3], v[168:169]
	v_fma_f64 v[42:43], v[42:43], s[6:7], v[168:169]
	;; [unrolled: 1-line block ×4, first 2 shown]
	v_add_f64_e32 v[54:55], v[120:121], v[56:57]
	v_add_f64_e32 v[58:59], v[164:165], v[58:59]
	;; [unrolled: 1-line block ×3, first 2 shown]
	v_fma_f64 v[74:75], v[156:157], s[6:7], v[142:143]
	v_add_f64_e32 v[22:23], v[228:229], v[68:69]
	v_fma_f64 v[72:73], v[178:179], s[2:3], v[158:159]
	v_fma_f64 v[70:71], v[156:157], s[2:3], v[142:143]
	v_fma_f64 v[68:69], v[178:179], s[6:7], v[158:159]
	v_add_f64_e32 v[52:53], v[134:135], v[66:67]
	v_fma_f64 v[66:67], v[78:79], s[2:3], v[140:141]
	v_fma_f64 v[78:79], v[78:79], s[6:7], v[140:141]
	;; [unrolled: 1-line block ×8, first 2 shown]
	v_add_f64_e32 v[20:21], v[20:21], v[16:17]
	v_add_f64_e32 v[16:17], v[136:137], v[101:102]
	;; [unrolled: 1-line block ×3, first 2 shown]
	global_store_b128 v[144:145], v[8:11], off
	v_fma_f64 v[10:11], v[88:89], s[2:3], v[188:189]
	v_fma_f64 v[90:91], v[88:89], s[6:7], v[188:189]
	;; [unrolled: 1-line block ×12, first 2 shown]
	v_add_f64_e32 v[84:85], v[203:204], v[110:111]
	v_fma_f64 v[110:111], v[226:227], s[2:3], v[160:161]
	v_fma_f64 v[108:109], v[232:233], s[6:7], v[150:151]
	s_clause 0x11
	global_store_b128 v[146:147], v[48:51], off
	global_store_b128 v[126:127], v[44:47], off
	;; [unrolled: 1-line block ×18, first 2 shown]
	v_add_nc_u32_e32 v7, 0x546, v250
	v_mad_co_u64_u32 v[2:3], null, s8, v250, 0
	v_mad_co_u64_u32 v[4:5], null, s9, v248, v[125:126]
	s_delay_alu instid0(VALU_DEP_3)
	v_mad_co_u64_u32 v[5:6], null, s8, v7, 0
	v_lshlrev_b64_e32 v[0:1], 4, v[174:175]
	v_add_nc_u32_e32 v23, 0xa8c, v250
	v_mul_hi_u32 v24, 0xc22e4507, v183
	v_fma_f64 v[102:103], v[138:139], s[2:3], v[130:131]
	v_mad_co_u64_u32 v[20:21], null, s9, v250, v[3:4]
	v_add_co_u32 v0, vcc_lo, v181, v0
	v_dual_mov_b32 v125, v4 :: v_dual_mov_b32 v4, v6
	s_wait_alu 0xfffd
	v_add_co_ci_u32_e32 v1, vcc_lo, v202, v1, vcc_lo
	v_mad_co_u64_u32 v[21:22], null, s8, v23, 0
	v_fma_f64 v[106:107], v[138:139], s[6:7], v[130:131]
	v_mov_b32_e32 v3, v20
	v_mad_co_u64_u32 v[6:7], null, s9, v7, v[4:5]
	v_lshrrev_b32_e32 v7, 10, v24
	v_mov_b32_e32 v4, v22
	s_delay_alu instid0(VALU_DEP_4) | instskip(NEXT) | instid1(VALU_DEP_3)
	v_lshlrev_b64_e32 v[2:3], 4, v[2:3]
	v_mad_u32_u24 v20, 0xa8c, v7, v183
	global_store_b128 v[0:1], v[112:115], off
	v_lshlrev_b64_e32 v[0:1], 4, v[124:125]
	v_mad_co_u64_u32 v[22:23], null, s9, v23, v[4:5]
	v_mad_co_u64_u32 v[23:24], null, s8, v20, 0
	v_lshlrev_b64_e32 v[4:5], 4, v[5:6]
	s_delay_alu instid0(VALU_DEP_4)
	v_add_co_u32 v0, vcc_lo, v181, v0
	s_wait_alu 0xfffd
	v_add_co_ci_u32_e32 v1, vcc_lo, v202, v1, vcc_lo
	v_add_co_u32 v2, vcc_lo, v181, v2
	s_wait_alu 0xfffd
	v_add_co_ci_u32_e32 v3, vcc_lo, v202, v3, vcc_lo
	global_store_b128 v[0:1], v[108:111], off
	v_mov_b32_e32 v0, v24
	global_store_b128 v[2:3], v[84:87], off
	v_lshlrev_b64_e32 v[1:2], 4, v[21:22]
	v_mul_hi_u32 v21, 0xc22e4507, v182
	v_add_co_u32 v3, vcc_lo, v181, v4
	s_wait_alu 0xfffd
	v_add_co_ci_u32_e32 v4, vcc_lo, v202, v5, vcc_lo
	s_delay_alu instid0(VALU_DEP_4)
	v_mad_co_u64_u32 v[6:7], null, s9, v20, v[0:1]
	v_add_nc_u32_e32 v7, 0x546, v20
	v_add_co_u32 v0, vcc_lo, v181, v1
	s_wait_alu 0xfffd
	v_add_co_ci_u32_e32 v1, vcc_lo, v202, v2, vcc_lo
	v_lshrrev_b32_e32 v2, 10, v21
	v_mov_b32_e32 v24, v6
	v_mad_co_u64_u32 v[5:6], null, s8, v7, 0
	v_add_nc_u32_e32 v22, 0xa8c, v20
	s_clause 0x1
	global_store_b128 v[3:4], v[104:107], off
	global_store_b128 v[0:1], v[100:103], off
	v_lshlrev_b64_e32 v[0:1], 4, v[23:24]
	v_mad_u32_u24 v24, 0xa8c, v2, v182
	v_mad_co_u64_u32 v[2:3], null, s8, v22, 0
	v_mov_b32_e32 v4, v6
	s_delay_alu instid0(VALU_DEP_3) | instskip(SKIP_1) | instid1(VALU_DEP_3)
	v_mad_co_u64_u32 v[20:21], null, s8, v24, 0
	v_add_co_u32 v0, vcc_lo, v181, v0
	v_mad_co_u64_u32 v[6:7], null, s9, v7, v[4:5]
	v_add_nc_u32_e32 v7, 0x546, v24
	v_mad_co_u64_u32 v[3:4], null, s9, v22, v[3:4]
	v_dual_mov_b32 v4, v21 :: v_dual_add_nc_u32 v27, 0xa8c, v24
	s_delay_alu instid0(VALU_DEP_3) | instskip(SKIP_2) | instid1(VALU_DEP_3)
	v_mad_co_u64_u32 v[22:23], null, s8, v7, 0
	s_wait_alu 0xfffd
	v_add_co_ci_u32_e32 v1, vcc_lo, v202, v1, vcc_lo
	v_mad_co_u64_u32 v[24:25], null, s9, v24, v[4:5]
	v_mad_co_u64_u32 v[25:26], null, s8, v27, 0
	global_store_b128 v[0:1], v[16:19], off
	v_mov_b32_e32 v0, v23
	v_lshlrev_b64_e32 v[2:3], 4, v[2:3]
	v_lshlrev_b64_e32 v[4:5], 4, v[5:6]
	v_mov_b32_e32 v21, v24
	s_delay_alu instid0(VALU_DEP_4) | instskip(SKIP_1) | instid1(VALU_DEP_4)
	v_mad_co_u64_u32 v[0:1], null, s9, v7, v[0:1]
	v_mov_b32_e32 v1, v26
	v_add_co_u32 v4, vcc_lo, v181, v4
	s_delay_alu instid0(VALU_DEP_4)
	v_lshlrev_b64_e32 v[16:17], 4, v[20:21]
	s_wait_alu 0xfffd
	v_add_co_ci_u32_e32 v5, vcc_lo, v202, v5, vcc_lo
	v_mad_co_u64_u32 v[6:7], null, s9, v27, v[1:2]
	v_mov_b32_e32 v23, v0
	v_add_co_u32 v0, vcc_lo, v181, v2
	s_wait_alu 0xfffd
	v_add_co_ci_u32_e32 v1, vcc_lo, v202, v3, vcc_lo
	s_delay_alu instid0(VALU_DEP_3) | instskip(SKIP_4) | instid1(VALU_DEP_3)
	v_lshlrev_b64_e32 v[2:3], 4, v[22:23]
	v_mov_b32_e32 v26, v6
	v_add_co_u32 v6, vcc_lo, v181, v16
	s_wait_alu 0xfffd
	v_add_co_ci_u32_e32 v7, vcc_lo, v202, v17, vcc_lo
	v_lshlrev_b64_e32 v[16:17], 4, v[25:26]
	v_add_co_u32 v2, vcc_lo, v181, v2
	s_wait_alu 0xfffd
	v_add_co_ci_u32_e32 v3, vcc_lo, v202, v3, vcc_lo
	s_delay_alu instid0(VALU_DEP_3)
	v_add_co_u32 v16, vcc_lo, v181, v16
	s_wait_alu 0xfffd
	v_add_co_ci_u32_e32 v17, vcc_lo, v202, v17, vcc_lo
	s_clause 0x4
	global_store_b128 v[4:5], v[96:99], off
	global_store_b128 v[0:1], v[92:95], off
	;; [unrolled: 1-line block ×5, first 2 shown]
.LBB0_15:
	s_nop 0
	s_sendmsg sendmsg(MSG_DEALLOC_VGPRS)
	s_endpgm
	.section	.rodata,"a",@progbits
	.p2align	6, 0x0
	.amdhsa_kernel fft_rtc_back_len4050_factors_10_5_3_3_3_3_wgs_135_tpt_135_halfLds_dp_ip_CI_sbrr_dirReg
		.amdhsa_group_segment_fixed_size 0
		.amdhsa_private_segment_fixed_size 0
		.amdhsa_kernarg_size 88
		.amdhsa_user_sgpr_count 2
		.amdhsa_user_sgpr_dispatch_ptr 0
		.amdhsa_user_sgpr_queue_ptr 0
		.amdhsa_user_sgpr_kernarg_segment_ptr 1
		.amdhsa_user_sgpr_dispatch_id 0
		.amdhsa_user_sgpr_private_segment_size 0
		.amdhsa_wavefront_size32 1
		.amdhsa_uses_dynamic_stack 0
		.amdhsa_enable_private_segment 0
		.amdhsa_system_sgpr_workgroup_id_x 1
		.amdhsa_system_sgpr_workgroup_id_y 0
		.amdhsa_system_sgpr_workgroup_id_z 0
		.amdhsa_system_sgpr_workgroup_info 0
		.amdhsa_system_vgpr_workitem_id 0
		.amdhsa_next_free_vgpr 256
		.amdhsa_next_free_sgpr 35
		.amdhsa_reserve_vcc 1
		.amdhsa_float_round_mode_32 0
		.amdhsa_float_round_mode_16_64 0
		.amdhsa_float_denorm_mode_32 3
		.amdhsa_float_denorm_mode_16_64 3
		.amdhsa_fp16_overflow 0
		.amdhsa_workgroup_processor_mode 1
		.amdhsa_memory_ordered 1
		.amdhsa_forward_progress 0
		.amdhsa_round_robin_scheduling 0
		.amdhsa_exception_fp_ieee_invalid_op 0
		.amdhsa_exception_fp_denorm_src 0
		.amdhsa_exception_fp_ieee_div_zero 0
		.amdhsa_exception_fp_ieee_overflow 0
		.amdhsa_exception_fp_ieee_underflow 0
		.amdhsa_exception_fp_ieee_inexact 0
		.amdhsa_exception_int_div_zero 0
	.end_amdhsa_kernel
	.text
.Lfunc_end0:
	.size	fft_rtc_back_len4050_factors_10_5_3_3_3_3_wgs_135_tpt_135_halfLds_dp_ip_CI_sbrr_dirReg, .Lfunc_end0-fft_rtc_back_len4050_factors_10_5_3_3_3_3_wgs_135_tpt_135_halfLds_dp_ip_CI_sbrr_dirReg
                                        ; -- End function
	.section	.AMDGPU.csdata,"",@progbits
; Kernel info:
; codeLenInByte = 25560
; NumSgprs: 37
; NumVgprs: 256
; ScratchSize: 0
; MemoryBound: 1
; FloatMode: 240
; IeeeMode: 1
; LDSByteSize: 0 bytes/workgroup (compile time only)
; SGPRBlocks: 4
; VGPRBlocks: 31
; NumSGPRsForWavesPerEU: 37
; NumVGPRsForWavesPerEU: 256
; Occupancy: 5
; WaveLimiterHint : 1
; COMPUTE_PGM_RSRC2:SCRATCH_EN: 0
; COMPUTE_PGM_RSRC2:USER_SGPR: 2
; COMPUTE_PGM_RSRC2:TRAP_HANDLER: 0
; COMPUTE_PGM_RSRC2:TGID_X_EN: 1
; COMPUTE_PGM_RSRC2:TGID_Y_EN: 0
; COMPUTE_PGM_RSRC2:TGID_Z_EN: 0
; COMPUTE_PGM_RSRC2:TIDIG_COMP_CNT: 0
	.text
	.p2alignl 7, 3214868480
	.fill 96, 4, 3214868480
	.type	__hip_cuid_adbb6d7e18b40203,@object ; @__hip_cuid_adbb6d7e18b40203
	.section	.bss,"aw",@nobits
	.globl	__hip_cuid_adbb6d7e18b40203
__hip_cuid_adbb6d7e18b40203:
	.byte	0                               ; 0x0
	.size	__hip_cuid_adbb6d7e18b40203, 1

	.ident	"AMD clang version 19.0.0git (https://github.com/RadeonOpenCompute/llvm-project roc-6.4.0 25133 c7fe45cf4b819c5991fe208aaa96edf142730f1d)"
	.section	".note.GNU-stack","",@progbits
	.addrsig
	.addrsig_sym __hip_cuid_adbb6d7e18b40203
	.amdgpu_metadata
---
amdhsa.kernels:
  - .args:
      - .actual_access:  read_only
        .address_space:  global
        .offset:         0
        .size:           8
        .value_kind:     global_buffer
      - .offset:         8
        .size:           8
        .value_kind:     by_value
      - .actual_access:  read_only
        .address_space:  global
        .offset:         16
        .size:           8
        .value_kind:     global_buffer
      - .actual_access:  read_only
        .address_space:  global
        .offset:         24
        .size:           8
        .value_kind:     global_buffer
      - .offset:         32
        .size:           8
        .value_kind:     by_value
      - .actual_access:  read_only
        .address_space:  global
        .offset:         40
        .size:           8
        .value_kind:     global_buffer
      - .actual_access:  read_only
        .address_space:  global
        .offset:         48
        .size:           8
        .value_kind:     global_buffer
      - .offset:         56
        .size:           4
        .value_kind:     by_value
      - .actual_access:  read_only
        .address_space:  global
        .offset:         64
        .size:           8
        .value_kind:     global_buffer
      - .actual_access:  read_only
        .address_space:  global
        .offset:         72
        .size:           8
        .value_kind:     global_buffer
      - .address_space:  global
        .offset:         80
        .size:           8
        .value_kind:     global_buffer
    .group_segment_fixed_size: 0
    .kernarg_segment_align: 8
    .kernarg_segment_size: 88
    .language:       OpenCL C
    .language_version:
      - 2
      - 0
    .max_flat_workgroup_size: 135
    .name:           fft_rtc_back_len4050_factors_10_5_3_3_3_3_wgs_135_tpt_135_halfLds_dp_ip_CI_sbrr_dirReg
    .private_segment_fixed_size: 0
    .sgpr_count:     37
    .sgpr_spill_count: 0
    .symbol:         fft_rtc_back_len4050_factors_10_5_3_3_3_3_wgs_135_tpt_135_halfLds_dp_ip_CI_sbrr_dirReg.kd
    .uniform_work_group_size: 1
    .uses_dynamic_stack: false
    .vgpr_count:     256
    .vgpr_spill_count: 0
    .wavefront_size: 32
    .workgroup_processor_mode: 1
amdhsa.target:   amdgcn-amd-amdhsa--gfx1201
amdhsa.version:
  - 1
  - 2
...

	.end_amdgpu_metadata
